;; amdgpu-corpus repo=ROCm/rocFFT kind=compiled arch=gfx950 opt=O3
	.text
	.amdgcn_target "amdgcn-amd-amdhsa--gfx950"
	.amdhsa_code_object_version 6
	.protected	fft_rtc_back_len3240_factors_3_3_10_6_6_wgs_108_tpt_108_halfLds_half_op_CI_CI_unitstride_sbrr_R2C_dirReg ; -- Begin function fft_rtc_back_len3240_factors_3_3_10_6_6_wgs_108_tpt_108_halfLds_half_op_CI_CI_unitstride_sbrr_R2C_dirReg
	.globl	fft_rtc_back_len3240_factors_3_3_10_6_6_wgs_108_tpt_108_halfLds_half_op_CI_CI_unitstride_sbrr_R2C_dirReg
	.p2align	8
	.type	fft_rtc_back_len3240_factors_3_3_10_6_6_wgs_108_tpt_108_halfLds_half_op_CI_CI_unitstride_sbrr_R2C_dirReg,@function
fft_rtc_back_len3240_factors_3_3_10_6_6_wgs_108_tpt_108_halfLds_half_op_CI_CI_unitstride_sbrr_R2C_dirReg: ; @fft_rtc_back_len3240_factors_3_3_10_6_6_wgs_108_tpt_108_halfLds_half_op_CI_CI_unitstride_sbrr_R2C_dirReg
; %bb.0:
	s_load_dwordx4 s[4:7], s[0:1], 0x58
	s_load_dwordx4 s[8:11], s[0:1], 0x0
	;; [unrolled: 1-line block ×3, first 2 shown]
	v_mul_u32_u24_e32 v1, 0x25f, v0
	v_add_u32_sdwa v6, s2, v1 dst_sel:DWORD dst_unused:UNUSED_PAD src0_sel:DWORD src1_sel:WORD_1
	v_mov_b32_e32 v4, 0
	s_waitcnt lgkmcnt(0)
	v_cmp_lt_u64_e64 s[2:3], s[10:11], 2
	v_mov_b32_e32 v7, v4
	s_and_b64 vcc, exec, s[2:3]
	v_mov_b64_e32 v[2:3], 0
	s_cbranch_vccnz .LBB0_8
; %bb.1:
	s_load_dwordx2 s[2:3], s[0:1], 0x10
	s_add_u32 s16, s14, 8
	s_addc_u32 s17, s15, 0
	s_add_u32 s18, s12, 8
	s_addc_u32 s19, s13, 0
	s_waitcnt lgkmcnt(0)
	s_add_u32 s20, s2, 8
	v_mov_b64_e32 v[2:3], 0
	s_addc_u32 s21, s3, 0
	s_mov_b64 s[22:23], 1
	v_mov_b64_e32 v[16:17], v[2:3]
.LBB0_2:                                ; =>This Inner Loop Header: Depth=1
	s_load_dwordx2 s[24:25], s[20:21], 0x0
                                        ; implicit-def: $vgpr20_vgpr21
	s_waitcnt lgkmcnt(0)
	v_or_b32_e32 v5, s25, v7
	v_cmp_ne_u64_e32 vcc, 0, v[4:5]
	s_and_saveexec_b64 s[2:3], vcc
	s_xor_b64 s[26:27], exec, s[2:3]
	s_cbranch_execz .LBB0_4
; %bb.3:                                ;   in Loop: Header=BB0_2 Depth=1
	v_cvt_f32_u32_e32 v1, s24
	v_cvt_f32_u32_e32 v5, s25
	s_sub_u32 s2, 0, s24
	s_subb_u32 s3, 0, s25
	v_fmac_f32_e32 v1, 0x4f800000, v5
	v_rcp_f32_e32 v1, v1
	s_nop 0
	v_mul_f32_e32 v1, 0x5f7ffffc, v1
	v_mul_f32_e32 v5, 0x2f800000, v1
	v_trunc_f32_e32 v5, v5
	v_fmac_f32_e32 v1, 0xcf800000, v5
	v_cvt_u32_f32_e32 v5, v5
	v_cvt_u32_f32_e32 v1, v1
	v_mul_lo_u32 v8, s2, v5
	v_mul_hi_u32 v10, s2, v1
	v_mul_lo_u32 v9, s3, v1
	v_add_u32_e32 v10, v10, v8
	v_mul_lo_u32 v12, s2, v1
	v_add_u32_e32 v13, v10, v9
	v_mul_hi_u32 v8, v1, v12
	v_mul_hi_u32 v11, v1, v13
	v_mul_lo_u32 v10, v1, v13
	v_mov_b32_e32 v9, v4
	v_lshl_add_u64 v[8:9], v[8:9], 0, v[10:11]
	v_mul_hi_u32 v11, v5, v12
	v_mul_lo_u32 v12, v5, v12
	v_add_co_u32_e32 v8, vcc, v8, v12
	v_mul_hi_u32 v10, v5, v13
	s_nop 0
	v_addc_co_u32_e32 v8, vcc, v9, v11, vcc
	v_mov_b32_e32 v9, v4
	s_nop 0
	v_addc_co_u32_e32 v11, vcc, 0, v10, vcc
	v_mul_lo_u32 v10, v5, v13
	v_lshl_add_u64 v[8:9], v[8:9], 0, v[10:11]
	v_add_co_u32_e32 v1, vcc, v1, v8
	v_mul_lo_u32 v10, s2, v1
	s_nop 0
	v_addc_co_u32_e32 v5, vcc, v5, v9, vcc
	v_mul_lo_u32 v8, s2, v5
	v_mul_hi_u32 v9, s2, v1
	v_add_u32_e32 v8, v9, v8
	v_mul_lo_u32 v9, s3, v1
	v_add_u32_e32 v12, v8, v9
	v_mul_hi_u32 v14, v5, v10
	v_mul_lo_u32 v15, v5, v10
	v_mul_hi_u32 v9, v1, v12
	v_mul_lo_u32 v8, v1, v12
	v_mul_hi_u32 v10, v1, v10
	v_mov_b32_e32 v11, v4
	v_lshl_add_u64 v[8:9], v[10:11], 0, v[8:9]
	v_add_co_u32_e32 v8, vcc, v8, v15
	v_mul_hi_u32 v13, v5, v12
	s_nop 0
	v_addc_co_u32_e32 v8, vcc, v9, v14, vcc
	v_mul_lo_u32 v10, v5, v12
	s_nop 0
	v_addc_co_u32_e32 v11, vcc, 0, v13, vcc
	v_mov_b32_e32 v9, v4
	v_lshl_add_u64 v[8:9], v[8:9], 0, v[10:11]
	v_add_co_u32_e32 v1, vcc, v1, v8
	v_mul_hi_u32 v10, v6, v1
	s_nop 0
	v_addc_co_u32_e32 v5, vcc, v5, v9, vcc
	v_mad_u64_u32 v[8:9], s[2:3], v6, v5, 0
	v_mov_b32_e32 v11, v4
	v_lshl_add_u64 v[8:9], v[10:11], 0, v[8:9]
	v_mad_u64_u32 v[12:13], s[2:3], v7, v1, 0
	v_add_co_u32_e32 v1, vcc, v8, v12
	v_mad_u64_u32 v[10:11], s[2:3], v7, v5, 0
	s_nop 0
	v_addc_co_u32_e32 v8, vcc, v9, v13, vcc
	v_mov_b32_e32 v9, v4
	s_nop 0
	v_addc_co_u32_e32 v11, vcc, 0, v11, vcc
	v_lshl_add_u64 v[8:9], v[8:9], 0, v[10:11]
	v_mul_lo_u32 v1, s25, v8
	v_mul_lo_u32 v5, s24, v9
	v_mad_u64_u32 v[10:11], s[2:3], s24, v8, 0
	v_add3_u32 v1, v11, v5, v1
	v_sub_u32_e32 v5, v7, v1
	v_mov_b32_e32 v11, s25
	v_sub_co_u32_e32 v14, vcc, v6, v10
	v_lshl_add_u64 v[12:13], v[8:9], 0, 1
	s_nop 0
	v_subb_co_u32_e64 v5, s[2:3], v5, v11, vcc
	v_subrev_co_u32_e64 v10, s[2:3], s24, v14
	v_subb_co_u32_e32 v1, vcc, v7, v1, vcc
	s_nop 0
	v_subbrev_co_u32_e64 v5, s[2:3], 0, v5, s[2:3]
	v_cmp_le_u32_e64 s[2:3], s25, v5
	v_cmp_le_u32_e32 vcc, s25, v1
	s_nop 0
	v_cndmask_b32_e64 v11, 0, -1, s[2:3]
	v_cmp_le_u32_e64 s[2:3], s24, v10
	s_nop 1
	v_cndmask_b32_e64 v10, 0, -1, s[2:3]
	v_cmp_eq_u32_e64 s[2:3], s25, v5
	s_nop 1
	v_cndmask_b32_e64 v5, v11, v10, s[2:3]
	v_lshl_add_u64 v[10:11], v[8:9], 0, 2
	v_cmp_ne_u32_e64 s[2:3], 0, v5
	s_nop 1
	v_cndmask_b32_e64 v5, v13, v11, s[2:3]
	v_cndmask_b32_e64 v11, 0, -1, vcc
	v_cmp_le_u32_e32 vcc, s24, v14
	s_nop 1
	v_cndmask_b32_e64 v13, 0, -1, vcc
	v_cmp_eq_u32_e32 vcc, s25, v1
	s_nop 1
	v_cndmask_b32_e32 v1, v11, v13, vcc
	v_cmp_ne_u32_e32 vcc, 0, v1
	v_cndmask_b32_e64 v1, v12, v10, s[2:3]
	s_nop 0
	v_cndmask_b32_e32 v21, v9, v5, vcc
	v_cndmask_b32_e32 v20, v8, v1, vcc
.LBB0_4:                                ;   in Loop: Header=BB0_2 Depth=1
	s_andn2_saveexec_b64 s[2:3], s[26:27]
	s_cbranch_execz .LBB0_6
; %bb.5:                                ;   in Loop: Header=BB0_2 Depth=1
	v_cvt_f32_u32_e32 v1, s24
	s_sub_i32 s26, 0, s24
	v_mov_b32_e32 v21, v4
	v_rcp_iflag_f32_e32 v1, v1
	s_nop 0
	v_mul_f32_e32 v1, 0x4f7ffffe, v1
	v_cvt_u32_f32_e32 v1, v1
	v_mul_lo_u32 v5, s26, v1
	v_mul_hi_u32 v5, v1, v5
	v_add_u32_e32 v1, v1, v5
	v_mul_hi_u32 v1, v6, v1
	v_mul_lo_u32 v5, v1, s24
	v_sub_u32_e32 v5, v6, v5
	v_add_u32_e32 v8, 1, v1
	v_subrev_u32_e32 v9, s24, v5
	v_cmp_le_u32_e32 vcc, s24, v5
	s_nop 1
	v_cndmask_b32_e32 v5, v5, v9, vcc
	v_cndmask_b32_e32 v1, v1, v8, vcc
	v_add_u32_e32 v8, 1, v1
	v_cmp_le_u32_e32 vcc, s24, v5
	s_nop 1
	v_cndmask_b32_e32 v20, v1, v8, vcc
.LBB0_6:                                ;   in Loop: Header=BB0_2 Depth=1
	s_or_b64 exec, exec, s[2:3]
	v_mad_u64_u32 v[8:9], s[2:3], v20, s24, 0
	s_load_dwordx2 s[2:3], s[18:19], 0x0
	v_mul_lo_u32 v1, v21, s24
	v_mul_lo_u32 v5, v20, s25
	s_load_dwordx2 s[24:25], s[16:17], 0x0
	s_add_u32 s22, s22, 1
	v_add3_u32 v1, v9, v5, v1
	v_sub_co_u32_e32 v5, vcc, v6, v8
	s_addc_u32 s23, s23, 0
	s_nop 0
	v_subb_co_u32_e32 v1, vcc, v7, v1, vcc
	s_add_u32 s16, s16, 8
	s_waitcnt lgkmcnt(0)
	v_mul_lo_u32 v6, s2, v1
	v_mul_lo_u32 v7, s3, v5
	v_mad_u64_u32 v[2:3], s[2:3], s2, v5, v[2:3]
	s_addc_u32 s17, s17, 0
	v_add3_u32 v3, v7, v3, v6
	v_mul_lo_u32 v1, s24, v1
	v_mul_lo_u32 v6, s25, v5
	v_mad_u64_u32 v[16:17], s[2:3], s24, v5, v[16:17]
	s_add_u32 s18, s18, 8
	v_add3_u32 v17, v6, v17, v1
	s_addc_u32 s19, s19, 0
	v_mov_b64_e32 v[6:7], s[10:11]
	s_add_u32 s20, s20, 8
	v_cmp_ge_u64_e32 vcc, s[22:23], v[6:7]
	s_addc_u32 s21, s21, 0
	s_cbranch_vccnz .LBB0_9
; %bb.7:                                ;   in Loop: Header=BB0_2 Depth=1
	v_mov_b64_e32 v[6:7], v[20:21]
	s_branch .LBB0_2
.LBB0_8:
	v_mov_b64_e32 v[16:17], v[2:3]
	v_mov_b64_e32 v[20:21], v[6:7]
.LBB0_9:
	s_load_dwordx2 s[18:19], s[0:1], 0x28
	s_lshl_b64 s[16:17], s[10:11], 3
	s_add_u32 s2, s14, s16
	s_addc_u32 s3, s15, s17
                                        ; implicit-def: $vgpr28_vgpr29
                                        ; implicit-def: $vgpr26_vgpr27
                                        ; implicit-def: $vgpr24_vgpr25
                                        ; implicit-def: $vgpr32_vgpr33
                                        ; implicit-def: $vgpr18
                                        ; implicit-def: $vgpr22
                                        ; implicit-def: $vgpr38
                                        ; implicit-def: $vgpr36
                                        ; implicit-def: $vgpr34
                                        ; implicit-def: $vgpr30
	s_waitcnt lgkmcnt(0)
	v_cmp_gt_u64_e64 s[0:1], s[18:19], v[20:21]
	v_cmp_le_u64_e32 vcc, s[18:19], v[20:21]
	s_and_saveexec_b64 s[10:11], vcc
	s_xor_b64 s[10:11], exec, s[10:11]
	s_cbranch_execz .LBB0_11
; %bb.10:
	s_mov_b32 s14, 0x25ed098
	v_mul_hi_u32 v1, v0, s14
	v_mul_u32_u24_e32 v1, 0x6c, v1
	v_sub_u32_e32 v18, v0, v1
	v_add_u32_e32 v33, 0x144, v18
	v_add_u32_e32 v25, 0x1b0, v18
	;; [unrolled: 1-line block ×9, first 2 shown]
	v_mov_b32_e32 v38, v33
	v_mov_b32_e32 v36, v25
	;; [unrolled: 1-line block ×4, first 2 shown]
                                        ; implicit-def: $vgpr0
                                        ; implicit-def: $vgpr2_vgpr3
.LBB0_11:
	s_andn2_saveexec_b64 s[10:11], s[10:11]
	s_cbranch_execz .LBB0_13
; %bb.12:
	s_add_u32 s12, s12, s16
	s_addc_u32 s13, s13, s17
	s_load_dwordx2 s[12:13], s[12:13], 0x0
	s_mov_b32 s14, 0x25ed098
	s_waitcnt lgkmcnt(0)
	v_mul_lo_u32 v1, s13, v20
	v_mul_lo_u32 v6, s12, v21
	v_mad_u64_u32 v[4:5], s[12:13], s12, v20, 0
	v_add3_u32 v5, v5, v6, v1
	v_mul_hi_u32 v1, v0, s14
	v_mul_u32_u24_e32 v1, 0x6c, v1
	v_sub_u32_e32 v18, v0, v1
	v_lshl_add_u64 v[0:1], v[4:5], 2, s[4:5]
	v_lshl_add_u64 v[0:1], v[2:3], 2, v[0:1]
	v_lshlrev_b32_e32 v2, 2, v18
	v_mov_b32_e32 v3, 0
	v_add_u32_e32 v32, 0xd8, v18
	v_lshl_add_u64 v[4:5], v[0:1], 0, v[2:3]
	v_add_u32_e32 v19, 0, v2
	v_add_u32_e32 v33, 0x144, v18
	v_mov_b32_e32 v2, v32
	v_lshl_add_u64 v[6:7], v[2:3], 2, v[0:1]
	v_mov_b32_e32 v2, v33
	v_add_u32_e32 v25, 0x1b0, v18
	v_lshl_add_u64 v[8:9], v[2:3], 2, v[0:1]
	v_add_u32_e32 v24, 0x21c, v18
	v_mov_b32_e32 v2, v25
	v_lshl_add_u64 v[10:11], v[2:3], 2, v[0:1]
	v_mov_b32_e32 v2, v24
	v_add_u32_e32 v26, 0x288, v18
	v_lshl_add_u64 v[12:13], v[2:3], 2, v[0:1]
	v_add_u32_e32 v27, 0x2f4, v18
	v_mov_b32_e32 v2, v26
	v_lshl_add_u64 v[14:15], v[2:3], 2, v[0:1]
	v_mov_b32_e32 v2, v27
	v_lshl_add_u64 v[22:23], v[2:3], 2, v[0:1]
	global_load_dword v30, v[4:5], off
	global_load_dword v31, v[4:5], off offset:432
	global_load_dword v34, v[6:7], off
	global_load_dword v35, v[8:9], off
	;; [unrolled: 1-line block ×6, first 2 shown]
	v_add_u32_e32 v28, 0x360, v18
	v_add_u32_e32 v29, 0x3cc, v18
	v_mov_b32_e32 v2, v28
	v_lshl_add_u64 v[6:7], v[2:3], 2, v[0:1]
	v_mov_b32_e32 v2, v29
	s_movk_i32 s4, 0x1000
	v_lshl_add_u64 v[0:1], v[2:3], 2, v[0:1]
	v_add_co_u32_e32 v2, vcc, s4, v4
	s_movk_i32 s4, 0x2000
	s_nop 0
	v_addc_co_u32_e32 v3, vcc, 0, v5, vcc
	global_load_dword v8, v[6:7], off
	global_load_dword v9, v[0:1], off
	global_load_dword v10, v[2:3], off offset:224
	global_load_dword v11, v[2:3], off offset:656
	;; [unrolled: 1-line block ×6, first 2 shown]
	v_add_co_u32_e32 v0, vcc, s4, v4
	v_add_u32_e32 v22, 0x6c, v18
	s_nop 0
	v_addc_co_u32_e32 v1, vcc, 0, v5, vcc
	global_load_dword v6, v[2:3], off offset:2816
	global_load_dword v7, v[2:3], off offset:3248
	;; [unrolled: 1-line block ×8, first 2 shown]
	v_add_co_u32_e32 v2, vcc, 0x3000, v4
	s_nop 1
	v_addc_co_u32_e32 v3, vcc, 0, v5, vcc
	global_load_dword v4, v[0:1], off offset:2176
	global_load_dword v5, v[0:1], off offset:2608
	;; [unrolled: 1-line block ×6, first 2 shown]
	v_lshl_add_u32 v0, v32, 2, 0
	v_lshl_add_u32 v1, v33, 2, 0
	v_lshl_add_u32 v2, v25, 2, 0
	v_lshl_add_u32 v3, v24, 2, 0
	s_waitcnt vmcnt(28)
	ds_write2_b32 v19, v30, v31 offset1:108
	s_waitcnt vmcnt(27)
	ds_write_b32 v0, v34
	s_waitcnt vmcnt(26)
	ds_write_b32 v1, v35
	;; [unrolled: 2-line block ×4, first 2 shown]
	v_lshl_add_u32 v0, v26, 2, 0
	s_waitcnt vmcnt(23)
	ds_write_b32 v0, v38
	v_lshl_add_u32 v0, v27, 2, 0
	s_waitcnt vmcnt(22)
	ds_write_b32 v0, v39
	v_lshl_add_u32 v0, v28, 2, 0
	v_mov_b32_e32 v30, v29
	v_mov_b32_e32 v34, v27
	s_waitcnt vmcnt(21)
	ds_write_b32 v0, v8
	v_lshl_add_u32 v0, v29, 2, 0
	s_waitcnt vmcnt(20)
	ds_write_b32 v0, v9
	v_add_u32_e32 v0, 0x1000, v19
	s_waitcnt vmcnt(18)
	ds_write2_b32 v0, v10, v11 offset0:56 offset1:164
	v_add_u32_e32 v0, 0x1400, v19
	s_waitcnt vmcnt(16)
	ds_write2_b32 v0, v12, v13 offset0:16 offset1:124
	;; [unrolled: 3-line block ×9, first 2 shown]
	v_add_u32_e32 v0, 0x2e00, v19
	v_mov_b32_e32 v36, v25
	v_mov_b32_e32 v38, v33
	s_waitcnt vmcnt(0)
	ds_write2_b32 v0, v47, v48 offset0:80 offset1:188
.LBB0_13:
	s_or_b64 exec, exec, s[10:11]
	v_lshlrev_b32_e32 v19, 2, v18
	v_add_u32_e32 v44, 0, v19
	v_add_u32_e32 v40, 0x600, v44
	s_load_dwordx2 s[2:3], s[2:3], 0x0
	s_waitcnt lgkmcnt(0)
	s_barrier
	ds_read2_b32 v[0:1], v40 offset0:48 offset1:156
	v_add_u32_e32 v59, 0x1600, v44
	v_add_u32_e32 v23, 0x2800, v44
	;; [unrolled: 1-line block ×3, first 2 shown]
	ds_read2_b32 v[2:3], v59 offset0:104 offset1:212
	ds_read2_b32 v[4:5], v37 offset0:96 offset1:204
	;; [unrolled: 1-line block ×3, first 2 shown]
	v_add_u32_e32 v8, 0x200, v44
	v_add_u32_e32 v53, 0x1400, v44
	ds_read2_b32 v[8:9], v8 offset0:88 offset1:196
	ds_read2_b32 v[10:11], v53 offset0:16 offset1:124
	v_add_u32_e32 v52, 0x2400, v44
	ds_read2_b32 v[12:13], v52 offset0:72 offset1:180
	s_waitcnt lgkmcnt(5)
	v_pk_add_f16 v14, v1, v3
	v_add_u32_e32 v64, 0x1000, v44
	s_waitcnt lgkmcnt(3)
	v_pk_add_f16 v41, v14, v7
	v_pk_add_f16 v14, v0, v2
	v_add_u32_e32 v60, 0x2000, v44
	v_pk_add_f16 v31, v14, v6
	s_waitcnt lgkmcnt(1)
	v_pk_add_f16 v14, v9, v11
	ds_read2_b32 v[42:43], v64 offset0:56 offset1:164
	ds_read2_b32 v[46:47], v60 offset0:112 offset1:220
	s_waitcnt lgkmcnt(2)
	v_pk_add_f16 v45, v14, v13
	ds_read2_b32 v[14:15], v44 offset1:108
	v_pk_add_f16 v35, v8, v10
	v_pk_add_f16 v58, v2, v6
	v_pk_add_f16 v63, v2, v6 neg_lo:[0,1] neg_hi:[0,1]
	v_pk_add_f16 v65, v3, v7
	v_pk_add_f16 v66, v3, v7 neg_lo:[0,1] neg_hi:[0,1]
	s_waitcnt lgkmcnt(1)
	v_pk_add_f16 v2, v42, v46
	v_pk_add_f16 v3, v42, v46 neg_lo:[0,1] neg_hi:[0,1]
	s_movk_i32 s4, 0x3aee
	v_pk_add_f16 v48, v35, v12
	s_waitcnt lgkmcnt(0)
	v_pk_add_f16 v35, v15, v43
	v_pk_fma_f16 v2, v2, 0.5, v14 op_sel_hi:[1,0,1] neg_lo:[1,0,0] neg_hi:[1,0,0]
	v_pk_mul_f16 v3, v3, s4 op_sel_hi:[1,0]
	v_pk_add_f16 v49, v14, v42
	v_pk_add_f16 v67, v43, v47
	v_pk_add_f16 v68, v43, v47 neg_lo:[0,1] neg_hi:[0,1]
	v_pk_add_f16 v35, v35, v47
	v_pk_add_f16 v14, v2, v3 op_sel:[0,1] op_sel_hi:[1,0] neg_lo:[0,1] neg_hi:[0,1]
	v_pk_add_f16 v47, v2, v3 op_sel:[0,1] op_sel_hi:[1,0]
	s_mov_b32 s5, 0xffff
	v_add_u32_e32 v39, 0x1e00, v44
	v_pk_add_f16 v46, v49, v46
	v_mad_u32_u24 v49, v18, 12, 0
	v_bfi_b32 v69, s5, v14, v47
	v_bfi_b32 v14, s5, v47, v14
	v_pk_add_f16 v50, v10, v12
	v_pk_add_f16 v51, v10, v12 neg_lo:[0,1] neg_hi:[0,1]
	v_pk_add_f16 v56, v11, v13
	v_pk_add_f16 v57, v11, v13 neg_lo:[0,1] neg_hi:[0,1]
	v_add_u32_e32 v54, 0x2e00, v44
	v_add_u32_e32 v61, 0x800, v44
	v_add_u32_e32 v62, 0x1a00, v44
	v_add_u32_e32 v55, 0x2a00, v44
	ds_read2_b32 v[2:3], v39 offset0:24 offset1:132
	ds_read2_b32 v[6:7], v54 offset0:80 offset1:188
	;; [unrolled: 1-line block ×5, first 2 shown]
	s_waitcnt lgkmcnt(0)
	s_barrier
	ds_write_b32 v49, v14 offset:8
	v_pk_fma_f16 v14, v67, 0.5, v15 op_sel_hi:[1,0,1] neg_lo:[1,0,0] neg_hi:[1,0,0]
	v_pk_mul_f16 v15, v68, s4 op_sel_hi:[1,0]
	ds_write2_b32 v49, v46, v69 offset1:1
	v_pk_add_f16 v46, v14, v15 op_sel:[0,1] op_sel_hi:[1,0] neg_lo:[0,1] neg_hi:[0,1]
	v_pk_add_f16 v14, v14, v15 op_sel:[0,1] op_sel_hi:[1,0]
	v_mad_i32_i24 v15, v22, 12, 0
	v_bfi_b32 v47, s5, v46, v14
	v_bfi_b32 v14, s5, v14, v46
	ds_write_b32 v15, v14 offset:8
	v_pk_fma_f16 v8, v50, 0.5, v8 op_sel_hi:[1,0,1] neg_lo:[1,0,0] neg_hi:[1,0,0]
	v_pk_mul_f16 v14, v51, s4 op_sel_hi:[1,0]
	ds_write2_b32 v15, v35, v47 offset1:1
	v_pk_add_f16 v15, v8, v14 op_sel:[0,1] op_sel_hi:[1,0] neg_lo:[0,1] neg_hi:[0,1]
	v_pk_add_f16 v8, v8, v14 op_sel:[0,1] op_sel_hi:[1,0]
	v_mad_i32_i24 v35, v32, 12, 0
	v_bfi_b32 v14, s5, v15, v8
	v_bfi_b32 v8, s5, v8, v15
	v_pk_fma_f16 v9, v56, 0.5, v9 op_sel_hi:[1,0,1] neg_lo:[1,0,0] neg_hi:[1,0,0]
	ds_write_b32 v35, v8 offset:8
	v_pk_mul_f16 v8, v57, s4 op_sel_hi:[1,0]
	ds_write2_b32 v35, v48, v14 offset1:1
	v_pk_add_f16 v14, v9, v8 op_sel:[0,1] op_sel_hi:[1,0] neg_lo:[0,1] neg_hi:[0,1]
	v_pk_add_f16 v8, v9, v8 op_sel:[0,1] op_sel_hi:[1,0]
	v_mad_i32_i24 v50, v38, 12, 0
	v_bfi_b32 v9, s5, v14, v8
	v_bfi_b32 v8, s5, v8, v14
	ds_write_b32 v50, v8 offset:8
	v_pk_fma_f16 v0, v58, 0.5, v0 op_sel_hi:[1,0,1] neg_lo:[1,0,0] neg_hi:[1,0,0]
	v_pk_mul_f16 v8, v63, s4 op_sel_hi:[1,0]
	ds_write2_b32 v50, v45, v9 offset1:1
	v_pk_add_f16 v9, v0, v8 op_sel:[0,1] op_sel_hi:[1,0] neg_lo:[0,1] neg_hi:[0,1]
	v_pk_add_f16 v0, v0, v8 op_sel:[0,1] op_sel_hi:[1,0]
	v_mad_i32_i24 v49, v36, 12, 0
	v_bfi_b32 v8, s5, v9, v0
	v_bfi_b32 v0, s5, v0, v9
	v_pk_fma_f16 v1, v65, 0.5, v1 op_sel_hi:[1,0,1] neg_lo:[1,0,0] neg_hi:[1,0,0]
	ds_write_b32 v49, v0 offset:8
	v_pk_mul_f16 v0, v66, s4 op_sel_hi:[1,0]
	v_mad_i32_i24 v48, v24, 12, 0
	v_pk_add_f16 v9, v1, v0 op_sel:[0,1] op_sel_hi:[1,0] neg_lo:[0,1] neg_hi:[0,1]
	v_pk_add_f16 v0, v1, v0 op_sel:[0,1] op_sel_hi:[1,0]
	ds_write2_b32 v49, v31, v8 offset1:1
	v_bfi_b32 v1, s5, v9, v0
	v_bfi_b32 v0, s5, v0, v9
	ds_write_b32 v48, v0 offset:8
	v_pk_add_f16 v0, v12, v42
	v_pk_add_f16 v9, v12, v42 neg_lo:[0,1] neg_hi:[0,1]
	v_pk_fma_f16 v0, v0, 0.5, v10 op_sel_hi:[1,0,1] neg_lo:[1,0,0] neg_hi:[1,0,0]
	v_pk_mul_f16 v9, v9, s4 op_sel_hi:[1,0]
	ds_write2_b32 v48, v41, v1 offset1:1
	v_pk_add_f16 v1, v10, v12
	v_pk_add_f16 v10, v0, v9 op_sel:[0,1] op_sel_hi:[1,0] neg_lo:[0,1] neg_hi:[0,1]
	v_pk_add_f16 v0, v0, v9 op_sel:[0,1] op_sel_hi:[1,0]
	v_mad_i32_i24 v31, v26, 12, 0
	v_bfi_b32 v9, s5, v10, v0
	v_bfi_b32 v0, s5, v0, v10
	ds_write_b32 v31, v0 offset:8
	v_pk_add_f16 v0, v13, v43
	v_pk_add_f16 v10, v13, v43 neg_lo:[0,1] neg_hi:[0,1]
	v_pk_add_f16 v1, v1, v42
	v_pk_fma_f16 v0, v0, 0.5, v11 op_sel_hi:[1,0,1] neg_lo:[1,0,0] neg_hi:[1,0,0]
	v_pk_mul_f16 v10, v10, s4 op_sel_hi:[1,0]
	ds_write2_b32 v31, v1, v9 offset1:1
	v_pk_add_f16 v9, v11, v13
	v_pk_add_f16 v11, v0, v10 op_sel:[0,1] op_sel_hi:[1,0] neg_lo:[0,1] neg_hi:[0,1]
	v_pk_add_f16 v0, v0, v10 op_sel:[0,1] op_sel_hi:[1,0]
	v_mad_i32_i24 v47, v34, 12, 0
	v_bfi_b32 v10, s5, v11, v0
	v_bfi_b32 v0, s5, v0, v11
	v_pk_add_f16 v1, v4, v2
	ds_write_b32 v47, v0 offset:8
	v_pk_add_f16 v0, v2, v6
	v_pk_add_f16 v2, v2, v6 neg_lo:[0,1] neg_hi:[0,1]
	v_pk_fma_f16 v0, v0, 0.5, v4 op_sel_hi:[1,0,1] neg_lo:[1,0,0] neg_hi:[1,0,0]
	v_pk_mul_f16 v2, v2, s4 op_sel_hi:[1,0]
	v_mad_i32_i24 v46, v28, 12, 0
	v_pk_add_f16 v4, v0, v2 op_sel:[0,1] op_sel_hi:[1,0] neg_lo:[0,1] neg_hi:[0,1]
	v_pk_add_f16 v0, v0, v2 op_sel:[0,1] op_sel_hi:[1,0]
	v_pk_add_f16 v1, v1, v6
	v_pk_add_f16 v9, v9, v43
	v_bfi_b32 v2, s5, v4, v0
	v_bfi_b32 v0, s5, v0, v4
	ds_write2_b32 v47, v9, v10 offset1:1
	ds_write2_b32 v46, v1, v2 offset1:1
	ds_write_b32 v46, v0 offset:8
	v_pk_add_f16 v0, v3, v7
	v_pk_add_f16 v1, v3, v7 neg_lo:[0,1] neg_hi:[0,1]
	v_pk_fma_f16 v0, v0, 0.5, v5 op_sel_hi:[1,0,1] neg_lo:[1,0,0] neg_hi:[1,0,0]
	v_pk_mul_f16 v1, v1, s4 op_sel_hi:[1,0]
	v_mad_i32_i24 v45, v30, 12, 0
	v_pk_add_f16 v2, v0, v1 op_sel:[0,1] op_sel_hi:[1,0] neg_lo:[0,1] neg_hi:[0,1]
	v_pk_add_f16 v0, v0, v1 op_sel:[0,1] op_sel_hi:[1,0]
	v_pk_add_f16 v8, v5, v3
	v_bfi_b32 v1, s5, v2, v0
	v_bfi_b32 v0, s5, v0, v2
	s_movk_i32 s5, 0xab
	ds_write_b32 v45, v0 offset:8
	v_mul_lo_u16_sdwa v0, v18, s5 dst_sel:DWORD dst_unused:UNUSED_PAD src0_sel:BYTE_0 src1_sel:DWORD
	v_lshrrev_b16_e32 v10, 9, v0
	v_mul_lo_u16_e32 v0, 3, v10
	v_pk_add_f16 v8, v8, v7
	v_sub_u16_e32 v11, v18, v0
	v_mov_b32_e32 v0, 3
	ds_write2_b32 v45, v8, v1 offset1:1
	v_lshlrev_b32_sdwa v1, v0, v11 dst_sel:DWORD dst_unused:UNUSED_PAD src0_sel:DWORD src1_sel:BYTE_0
	s_waitcnt lgkmcnt(0)
	s_barrier
	global_load_dwordx2 v[12:13], v1, s[8:9]
	v_mul_lo_u16_sdwa v1, v22, s5 dst_sel:DWORD dst_unused:UNUSED_PAD src0_sel:BYTE_0 src1_sel:DWORD
	v_lshrrev_b16_e32 v3, 9, v1
	v_mul_lo_u16_e32 v1, 3, v3
	v_sub_u16_e32 v4, v22, v1
	v_lshlrev_b32_sdwa v0, v0, v4 dst_sel:DWORD dst_unused:UNUSED_PAD src0_sel:DWORD src1_sel:BYTE_0
	global_load_dwordx2 v[56:57], v0, s[8:9]
	s_mov_b32 s5, 0xaaab
	v_mul_u32_u24_sdwa v9, v24, s5 dst_sel:DWORD dst_unused:UNUSED_PAD src0_sel:WORD_0 src1_sel:DWORD
	v_lshrrev_b32_e32 v43, 17, v9
	v_mul_lo_u16_e32 v9, 3, v43
	v_sub_u16_e32 v14, v24, v9
	v_lshlrev_b32_e32 v9, 3, v14
	global_load_dwordx2 v[74:75], v9, s[8:9]
	v_mul_u32_u24_sdwa v0, v32, s5 dst_sel:DWORD dst_unused:UNUSED_PAD src0_sel:WORD_0 src1_sel:DWORD
	v_lshrrev_b32_e32 v2, 17, v0
	v_mul_lo_u16_e32 v0, 3, v2
	v_sub_u16_e32 v1, v32, v0
	v_lshlrev_b32_e32 v0, 3, v1
	global_load_dwordx2 v[66:67], v0, s[8:9]
	;; [unrolled: 6-line block ×3, first 2 shown]
	v_mul_u32_u24_sdwa v5, v25, s5 dst_sel:DWORD dst_unused:UNUSED_PAD src0_sel:WORD_0 src1_sel:DWORD
	v_lshrrev_b32_e32 v8, 17, v5
	ds_read2_b32 v[70:71], v64 offset0:56 offset1:164
	v_mul_lo_u16_e32 v5, 3, v8
	v_sub_u16_e32 v7, v25, v5
	v_lshlrev_b32_e32 v5, 3, v7
	global_load_dwordx2 v[72:73], v5, s[8:9]
	s_waitcnt lgkmcnt(0)
	v_lshrrev_b32_e32 v5, 16, v70
	ds_read2_b32 v[76:77], v60 offset0:112 offset1:220
	v_lshlrev_b32_e32 v58, 3, v24
	v_mul_u32_u24_e32 v10, 36, v10
	v_mul_u32_u24_e32 v3, 36, v3
	s_mov_b32 s10, 0x5040100
	v_perm_b32 v2, v6, v2, s10
	v_pk_mul_lo_u16 v2, v2, 36 op_sel_hi:[1,0]
	v_lshlrev_b32_e32 v1, 2, v1
	v_and_b32_e32 v6, 0xfffc, v2
	v_add3_u32 v1, 0, v6, v1
	v_lshrrev_b32_e32 v2, 16, v2
	v_lshlrev_b32_e32 v0, 2, v0
	v_add3_u32 v0, 0, v2, v0
	v_perm_b32 v8, v8, v43, s10
	v_pk_mul_lo_u16 v8, v8, 36 op_sel_hi:[1,0]
	v_lshlrev_b32_e32 v7, 2, v7
	s_movk_i32 s14, 0x3b9c
	s_mov_b32 s11, 0xbb9c
	s_mov_b32 s12, 0xb8b4
	s_movk_i32 s13, 0x34f2
	s_movk_i32 s15, 0x3a79
	s_mov_b32 s16, 0xb4f2
	s_mov_b32 s17, 0xba79
	s_waitcnt vmcnt(5)
	v_mul_f16_sdwa v9, v12, v70 dst_sel:DWORD dst_unused:UNUSED_PAD src0_sel:WORD_1 src1_sel:DWORD
	v_fma_f16 v84, v12, v5, -v9
	v_mul_f16_sdwa v5, v12, v5 dst_sel:DWORD dst_unused:UNUSED_PAD src0_sel:WORD_1 src1_sel:DWORD
	v_mul_u32_u24_sdwa v9, v26, s5 dst_sel:DWORD dst_unused:UNUSED_PAD src0_sel:WORD_0 src1_sel:DWORD
	v_fma_f16 v85, v12, v70, v5
	v_lshrrev_b32_e32 v12, 17, v9
	v_mul_lo_u16_e32 v9, 3, v12
	v_sub_u16_e32 v9, v26, v9
	v_lshlrev_b32_e32 v15, 3, v9
	s_waitcnt lgkmcnt(0)
	v_lshrrev_b32_e32 v5, 16, v76
	global_load_dwordx2 v[78:79], v15, s[8:9]
	v_mul_f16_sdwa v15, v76, v13 dst_sel:DWORD dst_unused:UNUSED_PAD src0_sel:DWORD src1_sel:WORD_1
	v_fma_f16 v86, v5, v13, -v15
	v_mul_f16_sdwa v5, v5, v13 dst_sel:DWORD dst_unused:UNUSED_PAD src0_sel:DWORD src1_sel:WORD_1
	v_fma_f16 v87, v76, v13, v5
	v_mul_u32_u24_sdwa v5, v27, s5 dst_sel:DWORD dst_unused:UNUSED_PAD src0_sel:WORD_0 src1_sel:DWORD
	v_lshrrev_b32_e32 v13, 17, v5
	v_mul_lo_u16_e32 v5, 3, v13
	v_sub_u16_e32 v5, v27, v5
	v_lshlrev_b32_e32 v15, 3, v5
	global_load_dwordx2 v[80:81], v15, s[8:9]
	v_lshrrev_b32_e32 v15, 16, v71
	s_waitcnt vmcnt(6)
	v_mul_f16_sdwa v27, v15, v56 dst_sel:DWORD dst_unused:UNUSED_PAD src0_sel:DWORD src1_sel:WORD_1
	v_fma_f16 v88, v71, v56, v27
	v_mul_f16_sdwa v27, v71, v56 dst_sel:DWORD dst_unused:UNUSED_PAD src0_sel:DWORD src1_sel:WORD_1
	v_fma_f16 v89, v15, v56, -v27
	v_mul_u32_u24_sdwa v15, v28, s5 dst_sel:DWORD dst_unused:UNUSED_PAD src0_sel:WORD_0 src1_sel:DWORD
	v_lshrrev_b32_e32 v42, 17, v15
	v_mul_lo_u16_e32 v15, 3, v42
	v_sub_u16_e32 v15, v28, v15
	v_lshrrev_b32_e32 v27, 16, v77
	v_lshlrev_b32_e32 v41, 3, v15
	global_load_dwordx2 v[70:71], v41, s[8:9]
	v_mul_f16_sdwa v41, v27, v57 dst_sel:DWORD dst_unused:UNUSED_PAD src0_sel:DWORD src1_sel:WORD_1
	v_fma_f16 v90, v77, v57, v41
	v_mul_u32_u24_sdwa v41, v29, s5 dst_sel:DWORD dst_unused:UNUSED_PAD src0_sel:WORD_0 src1_sel:DWORD
	v_lshrrev_b32_e32 v91, 17, v41
	v_mul_lo_u16_e32 v41, 3, v91
	v_sub_u16_e32 v41, v29, v41
	v_lshlrev_b32_e32 v29, 3, v41
	global_load_dwordx2 v[82:83], v29, s[8:9]
	v_mul_f16_sdwa v51, v77, v57 dst_sel:DWORD dst_unused:UNUSED_PAD src0_sel:DWORD src1_sel:WORD_1
	ds_read2_b32 v[76:77], v53 offset0:16 offset1:124
	v_fma_f16 v92, v27, v57, -v51
	ds_read2_b32 v[56:57], v52 offset0:72 offset1:180
	v_lshl_add_u32 v51, v22, 2, 0
	v_sub_f16_e32 v122, v84, v86
	s_waitcnt lgkmcnt(1)
	v_lshrrev_b32_e32 v27, 16, v76
	s_waitcnt vmcnt(6)
	v_mul_f16_sdwa v29, v76, v66 dst_sel:DWORD dst_unused:UNUSED_PAD src0_sel:DWORD src1_sel:WORD_1
	v_fma_f16 v93, v27, v66, -v29
	v_mul_f16_sdwa v27, v27, v66 dst_sel:DWORD dst_unused:UNUSED_PAD src0_sel:DWORD src1_sel:WORD_1
	v_fma_f16 v76, v76, v66, v27
	s_waitcnt lgkmcnt(0)
	v_lshrrev_b32_e32 v27, 16, v56
	v_mul_f16_sdwa v29, v56, v67 dst_sel:DWORD dst_unused:UNUSED_PAD src0_sel:DWORD src1_sel:WORD_1
	v_fma_f16 v94, v27, v67, -v29
	v_mul_f16_sdwa v27, v27, v67 dst_sel:DWORD dst_unused:UNUSED_PAD src0_sel:DWORD src1_sel:WORD_1
	v_fma_f16 v95, v56, v67, v27
	v_lshrrev_b32_e32 v27, 16, v77
	s_waitcnt vmcnt(5)
	v_mul_f16_sdwa v29, v27, v68 dst_sel:DWORD dst_unused:UNUSED_PAD src0_sel:DWORD src1_sel:WORD_1
	v_fma_f16 v96, v77, v68, v29
	v_mul_f16_sdwa v29, v77, v68 dst_sel:DWORD dst_unused:UNUSED_PAD src0_sel:DWORD src1_sel:WORD_1
	v_fma_f16 v77, v27, v68, -v29
	v_lshrrev_b32_e32 v27, 16, v57
	ds_read2_b32 v[66:67], v59 offset0:104 offset1:212
	v_mul_f16_sdwa v29, v27, v69 dst_sel:DWORD dst_unused:UNUSED_PAD src0_sel:DWORD src1_sel:WORD_1
	v_fma_f16 v97, v57, v69, v29
	v_mul_f16_sdwa v29, v57, v69 dst_sel:DWORD dst_unused:UNUSED_PAD src0_sel:DWORD src1_sel:WORD_1
	ds_read2_b32 v[56:57], v23 offset0:32 offset1:140
	v_fma_f16 v98, v27, v69, -v29
	s_waitcnt lgkmcnt(1)
	v_lshrrev_b32_e32 v27, 16, v66
	s_waitcnt vmcnt(4)
	v_mul_f16_sdwa v29, v66, v72 dst_sel:DWORD dst_unused:UNUSED_PAD src0_sel:DWORD src1_sel:WORD_1
	v_fma_f16 v99, v27, v72, -v29
	v_mul_f16_sdwa v27, v27, v72 dst_sel:DWORD dst_unused:UNUSED_PAD src0_sel:DWORD src1_sel:WORD_1
	v_fma_f16 v72, v66, v72, v27
	s_waitcnt lgkmcnt(0)
	v_lshrrev_b32_e32 v27, 16, v56
	v_mul_f16_sdwa v29, v56, v73 dst_sel:DWORD dst_unused:UNUSED_PAD src0_sel:DWORD src1_sel:WORD_1
	v_fma_f16 v100, v27, v73, -v29
	v_mul_f16_sdwa v27, v27, v73 dst_sel:DWORD dst_unused:UNUSED_PAD src0_sel:DWORD src1_sel:WORD_1
	v_fma_f16 v73, v56, v73, v27
	v_lshrrev_b32_e32 v27, 16, v67
	v_mul_f16_sdwa v29, v27, v74 dst_sel:DWORD dst_unused:UNUSED_PAD src0_sel:DWORD src1_sel:WORD_1
	v_fma_f16 v101, v67, v74, v29
	v_mul_f16_sdwa v29, v67, v74 dst_sel:DWORD dst_unused:UNUSED_PAD src0_sel:DWORD src1_sel:WORD_1
	v_fma_f16 v74, v27, v74, -v29
	v_lshrrev_b32_e32 v27, 16, v57
	ds_read2_b32 v[66:67], v62 offset0:64 offset1:172
	v_mul_f16_sdwa v29, v27, v75 dst_sel:DWORD dst_unused:UNUSED_PAD src0_sel:DWORD src1_sel:WORD_1
	v_fma_f16 v102, v57, v75, v29
	v_mul_f16_sdwa v29, v57, v75 dst_sel:DWORD dst_unused:UNUSED_PAD src0_sel:DWORD src1_sel:WORD_1
	ds_read2_b32 v[56:57], v55 offset0:120 offset1:228
	v_fma_f16 v75, v27, v75, -v29
	s_waitcnt lgkmcnt(1)
	v_lshrrev_b32_e32 v27, 16, v66
	s_waitcnt vmcnt(3)
	v_mul_f16_sdwa v29, v66, v78 dst_sel:DWORD dst_unused:UNUSED_PAD src0_sel:DWORD src1_sel:WORD_1
	v_fma_f16 v103, v27, v78, -v29
	v_mul_f16_sdwa v27, v27, v78 dst_sel:DWORD dst_unused:UNUSED_PAD src0_sel:DWORD src1_sel:WORD_1
	v_fma_f16 v78, v66, v78, v27
	s_waitcnt lgkmcnt(0)
	v_lshrrev_b32_e32 v27, 16, v56
	v_mul_f16_sdwa v29, v56, v79 dst_sel:DWORD dst_unused:UNUSED_PAD src0_sel:DWORD src1_sel:WORD_1
	v_fma_f16 v104, v27, v79, -v29
	v_mul_f16_sdwa v27, v27, v79 dst_sel:DWORD dst_unused:UNUSED_PAD src0_sel:DWORD src1_sel:WORD_1
	v_fma_f16 v79, v56, v79, v27
	v_lshrrev_b32_e32 v27, 16, v67
	s_waitcnt vmcnt(2)
	v_mul_f16_sdwa v29, v27, v80 dst_sel:DWORD dst_unused:UNUSED_PAD src0_sel:DWORD src1_sel:WORD_1
	v_fma_f16 v105, v67, v80, v29
	v_mul_f16_sdwa v29, v67, v80 dst_sel:DWORD dst_unused:UNUSED_PAD src0_sel:DWORD src1_sel:WORD_1
	v_fma_f16 v80, v27, v80, -v29
	v_lshrrev_b32_e32 v27, 16, v57
	ds_read2_b32 v[66:67], v39 offset0:24 offset1:132
	v_mul_f16_sdwa v29, v27, v81 dst_sel:DWORD dst_unused:UNUSED_PAD src0_sel:DWORD src1_sel:WORD_1
	v_fma_f16 v106, v57, v81, v29
	v_mul_f16_sdwa v29, v57, v81 dst_sel:DWORD dst_unused:UNUSED_PAD src0_sel:DWORD src1_sel:WORD_1
	ds_read2_b32 v[56:57], v54 offset0:80 offset1:188
	v_fma_f16 v81, v27, v81, -v29
	s_waitcnt lgkmcnt(1)
	v_lshrrev_b32_e32 v27, 16, v66
	s_waitcnt vmcnt(1)
	v_mul_f16_sdwa v29, v66, v70 dst_sel:DWORD dst_unused:UNUSED_PAD src0_sel:DWORD src1_sel:WORD_1
	v_fma_f16 v107, v27, v70, -v29
	v_mul_f16_sdwa v27, v27, v70 dst_sel:DWORD dst_unused:UNUSED_PAD src0_sel:DWORD src1_sel:WORD_1
	v_fma_f16 v108, v66, v70, v27
	s_waitcnt lgkmcnt(0)
	v_lshrrev_b32_e32 v27, 16, v56
	v_mul_f16_sdwa v29, v56, v71 dst_sel:DWORD dst_unused:UNUSED_PAD src0_sel:DWORD src1_sel:WORD_1
	v_fma_f16 v109, v27, v71, -v29
	v_mul_f16_sdwa v27, v27, v71 dst_sel:DWORD dst_unused:UNUSED_PAD src0_sel:DWORD src1_sel:WORD_1
	v_fma_f16 v110, v56, v71, v27
	v_lshrrev_b32_e32 v27, 16, v67
	s_waitcnt vmcnt(0)
	v_mul_f16_sdwa v29, v27, v82 dst_sel:DWORD dst_unused:UNUSED_PAD src0_sel:DWORD src1_sel:WORD_1
	v_fma_f16 v111, v67, v82, v29
	v_mul_f16_sdwa v29, v67, v82 dst_sel:DWORD dst_unused:UNUSED_PAD src0_sel:DWORD src1_sel:WORD_1
	v_fma_f16 v82, v27, v82, -v29
	v_lshrrev_b32_e32 v27, 16, v57
	v_mul_f16_sdwa v29, v27, v83 dst_sel:DWORD dst_unused:UNUSED_PAD src0_sel:DWORD src1_sel:WORD_1
	v_fma_f16 v112, v57, v83, v29
	v_mul_f16_sdwa v29, v57, v83 dst_sel:DWORD dst_unused:UNUSED_PAD src0_sel:DWORD src1_sel:WORD_1
	v_fma_f16 v83, v27, v83, -v29
	v_lshlrev_b32_e32 v27, 3, v34
	v_sub_u32_e32 v68, v47, v27
	v_lshlrev_b32_e32 v29, 3, v32
	v_lshlrev_b32_e32 v56, 3, v38
	;; [unrolled: 1-line block ×4, first 2 shown]
	v_sub_u32_e32 v67, v35, v29
	v_sub_u32_e32 v65, v50, v56
	;; [unrolled: 1-line block ×5, first 2 shown]
	ds_read_b32 v69, v44
	ds_read_b32 v114, v51
	;; [unrolled: 1-line block ×8, first 2 shown]
	s_waitcnt lgkmcnt(7)
	v_lshrrev_b32_e32 v68, 16, v69
	v_add_f16_e32 v71, v68, v84
	v_add_f16_e32 v121, v71, v86
	;; [unrolled: 1-line block ×3, first 2 shown]
	v_fma_f16 v84, v71, -0.5, v68
	v_add_f16_e32 v68, v85, v87
	v_fma_f16 v86, v68, -0.5, v69
	v_add_f16_e32 v68, v69, v85
	v_mov_b32_e32 v71, 2
	v_add_f16_e32 v68, v68, v87
	v_sub_f16_e32 v85, v85, v87
	v_lshlrev_b32_sdwa v11, v71, v11 dst_sel:DWORD dst_unused:UNUSED_PAD src0_sel:DWORD src1_sel:BYTE_0
	s_mov_b32 s5, 0xbaee
	v_add3_u32 v10, 0, v10, v11
	v_pack_b32_f16 v11, v68, v121
	v_fma_f16 v68, v122, s5, v86
	v_fma_f16 v69, v85, s4, v84
	v_pack_b32_f16 v87, v68, v69
	v_lshlrev_b32_e32 v69, 3, v28
	v_sub_u32_e32 v121, v46, v69
	v_lshlrev_b32_e32 v68, 3, v30
	v_sub_u32_e32 v123, v45, v68
	ds_read_b32 v121, v121
	ds_read_b32 v124, v123
	s_waitcnt lgkmcnt(0)
	s_barrier
	ds_write2_b32 v10, v11, v87 offset1:3
	v_fma_f16 v11, v122, s4, v86
	v_fma_f16 v84, v85, s5, v84
	v_pack_b32_f16 v11, v11, v84
	ds_write_b32 v10, v11 offset:24
	v_lshrrev_b32_e32 v10, 16, v114
	v_add_f16_e32 v85, v89, v92
	v_add_f16_e32 v11, v10, v89
	v_fma_f16 v10, v85, -0.5, v10
	v_add_f16_e32 v85, v88, v90
	v_add_f16_e32 v86, v114, v88
	;; [unrolled: 1-line block ×3, first 2 shown]
	v_sub_f16_e32 v84, v89, v92
	v_fma_f16 v85, v85, -0.5, v114
	v_add_f16_e32 v86, v86, v90
	v_sub_f16_e32 v87, v88, v90
	v_lshlrev_b32_sdwa v4, v71, v4 dst_sel:DWORD dst_unused:UNUSED_PAD src0_sel:DWORD src1_sel:BYTE_0
	v_add3_u32 v3, 0, v3, v4
	v_pack_b32_f16 v4, v86, v11
	v_fma_f16 v11, v84, s5, v85
	v_fma_f16 v86, v87, s4, v10
	v_pack_b32_f16 v11, v11, v86
	ds_write2_b32 v3, v4, v11 offset1:3
	v_fma_f16 v4, v84, s4, v85
	v_fma_f16 v10, v87, s5, v10
	v_pack_b32_f16 v4, v4, v10
	ds_write_b32 v3, v4 offset:24
	v_lshrrev_b32_e32 v3, 16, v115
	v_add_f16_e32 v11, v93, v94
	v_add_f16_e32 v4, v3, v93
	v_fma_f16 v3, v11, -0.5, v3
	v_add_f16_e32 v11, v76, v95
	v_add_f16_e32 v84, v115, v76
	v_add_f16_e32 v4, v4, v94
	v_sub_f16_e32 v10, v93, v94
	v_fma_f16 v11, v11, -0.5, v115
	v_add_f16_e32 v84, v84, v95
	v_sub_f16_e32 v76, v76, v95
	v_pack_b32_f16 v4, v84, v4
	v_fma_f16 v6, v10, s5, v11
	v_fma_f16 v84, v76, s4, v3
	v_pack_b32_f16 v6, v6, v84
	ds_write2_b32 v1, v4, v6 offset1:3
	v_fma_f16 v4, v10, s4, v11
	v_fma_f16 v3, v76, s5, v3
	v_pack_b32_f16 v3, v4, v3
	ds_write_b32 v1, v3 offset:24
	v_lshrrev_b32_e32 v1, 16, v116
	v_add_f16_e32 v6, v77, v98
	v_add_f16_e32 v3, v1, v77
	v_fma_f16 v1, v6, -0.5, v1
	v_add_f16_e32 v6, v96, v97
	v_add_f16_e32 v10, v116, v96
	v_add_f16_e32 v3, v3, v98
	v_sub_f16_e32 v4, v77, v98
	v_fma_f16 v6, v6, -0.5, v116
	v_add_f16_e32 v10, v10, v97
	v_sub_f16_e32 v11, v96, v97
	;; [unrolled: 20-line block ×3, first 2 shown]
	v_lshrrev_b32_e32 v10, 16, v8
	v_add3_u32 v7, 0, v10, v7
	v_pack_b32_f16 v1, v4, v1
	v_fma_f16 v4, v2, s5, v3
	v_fma_f16 v10, v6, s4, v0
	v_pack_b32_f16 v4, v4, v10
	ds_write2_b32 v7, v1, v4 offset1:3
	v_fma_f16 v1, v2, s4, v3
	v_fma_f16 v0, v6, s5, v0
	v_pack_b32_f16 v0, v1, v0
	ds_write_b32 v7, v0 offset:24
	v_lshrrev_b32_e32 v0, 16, v118
	v_add_f16_e32 v3, v74, v75
	v_add_f16_e32 v1, v0, v74
	v_fma_f16 v0, v3, -0.5, v0
	v_add_f16_e32 v3, v101, v102
	v_add_f16_e32 v4, v118, v101
	;; [unrolled: 1-line block ×3, first 2 shown]
	v_sub_f16_e32 v2, v74, v75
	v_fma_f16 v3, v3, -0.5, v118
	v_add_f16_e32 v4, v4, v102
	v_sub_f16_e32 v6, v101, v102
	v_and_b32_e32 v7, 0xfffc, v8
	v_lshlrev_b32_e32 v8, 2, v14
	v_add3_u32 v7, 0, v7, v8
	v_pack_b32_f16 v1, v4, v1
	v_fma_f16 v4, v2, s5, v3
	v_fma_f16 v8, v6, s4, v0
	v_pack_b32_f16 v4, v4, v8
	ds_write2_b32 v7, v1, v4 offset1:3
	v_fma_f16 v1, v2, s4, v3
	v_fma_f16 v0, v6, s5, v0
	v_pack_b32_f16 v0, v1, v0
	ds_write_b32 v7, v0 offset:24
	v_lshrrev_b32_e32 v0, 16, v120
	v_add_f16_e32 v3, v103, v104
	v_perm_b32 v7, v13, v12, s10
	v_add_f16_e32 v1, v0, v103
	v_fma_f16 v0, v3, -0.5, v0
	v_add_f16_e32 v3, v78, v79
	v_add_f16_e32 v4, v120, v78
	v_pk_mul_lo_u16 v7, v7, 36 op_sel_hi:[1,0]
	v_add_f16_e32 v1, v1, v104
	v_sub_f16_e32 v2, v103, v104
	v_fma_f16 v3, v3, -0.5, v120
	v_add_f16_e32 v4, v4, v79
	v_sub_f16_e32 v6, v78, v79
	v_lshlrev_b32_e32 v8, 2, v9
	v_and_b32_e32 v9, 0xfffc, v7
	v_add3_u32 v8, 0, v9, v8
	v_pack_b32_f16 v1, v4, v1
	v_fma_f16 v4, v2, s5, v3
	v_fma_f16 v9, v6, s4, v0
	v_pack_b32_f16 v4, v4, v9
	ds_write2_b32 v8, v1, v4 offset1:3
	v_fma_f16 v1, v2, s4, v3
	v_fma_f16 v0, v6, s5, v0
	v_pack_b32_f16 v0, v1, v0
	ds_write_b32 v8, v0 offset:24
	v_lshrrev_b32_e32 v0, 16, v119
	v_add_f16_e32 v3, v80, v81
	v_add_f16_e32 v1, v0, v80
	v_fma_f16 v0, v3, -0.5, v0
	v_add_f16_e32 v3, v105, v106
	v_add_f16_e32 v4, v119, v105
	;; [unrolled: 1-line block ×3, first 2 shown]
	v_sub_f16_e32 v2, v80, v81
	v_fma_f16 v3, v3, -0.5, v119
	v_add_f16_e32 v4, v4, v106
	v_sub_f16_e32 v6, v105, v106
	v_lshrrev_b32_e32 v7, 16, v7
	v_lshlrev_b32_e32 v5, 2, v5
	v_add3_u32 v5, 0, v7, v5
	v_pack_b32_f16 v1, v4, v1
	v_fma_f16 v4, v2, s5, v3
	v_fma_f16 v7, v6, s4, v0
	v_pack_b32_f16 v4, v4, v7
	ds_write2_b32 v5, v1, v4 offset1:3
	v_fma_f16 v1, v2, s4, v3
	v_fma_f16 v0, v6, s5, v0
	v_pack_b32_f16 v0, v1, v0
	ds_write_b32 v5, v0 offset:24
	v_lshrrev_b32_e32 v0, 16, v121
	v_add_f16_e32 v3, v107, v109
	v_perm_b32 v6, v91, v42, s10
	v_add_f16_e32 v1, v0, v107
	v_fma_f16 v0, v3, -0.5, v0
	v_add_f16_e32 v3, v108, v110
	v_add_f16_e32 v4, v121, v108
	v_pk_mul_lo_u16 v6, v6, 36 op_sel_hi:[1,0]
	v_add_f16_e32 v1, v1, v109
	v_sub_f16_e32 v2, v107, v109
	v_fma_f16 v3, v3, -0.5, v121
	v_add_f16_e32 v4, v4, v110
	v_sub_f16_e32 v5, v108, v110
	v_lshlrev_b32_e32 v7, 2, v15
	v_and_b32_e32 v8, 0xfffc, v6
	v_add3_u32 v7, 0, v8, v7
	v_pack_b32_f16 v1, v4, v1
	v_fma_f16 v4, v2, s5, v3
	v_fma_f16 v8, v5, s4, v0
	v_pack_b32_f16 v4, v4, v8
	ds_write2_b32 v7, v1, v4 offset1:3
	v_fma_f16 v1, v2, s4, v3
	v_fma_f16 v0, v5, s5, v0
	v_pack_b32_f16 v0, v1, v0
	ds_write_b32 v7, v0 offset:24
	v_lshrrev_b32_e32 v0, 16, v124
	v_add_f16_e32 v3, v82, v83
	v_add_f16_e32 v1, v0, v82
	v_fma_f16 v0, v3, -0.5, v0
	v_add_f16_e32 v3, v111, v112
	v_add_f16_e32 v4, v124, v111
	;; [unrolled: 1-line block ×3, first 2 shown]
	v_sub_f16_e32 v2, v82, v83
	v_fma_f16 v3, v3, -0.5, v124
	v_add_f16_e32 v4, v4, v112
	v_sub_f16_e32 v5, v111, v112
	v_lshrrev_b32_e32 v6, 16, v6
	v_lshlrev_b32_e32 v7, 2, v41
	v_add3_u32 v6, 0, v6, v7
	v_pack_b32_f16 v1, v4, v1
	v_fma_f16 v4, v2, s5, v3
	v_fma_f16 v7, v5, s4, v0
	v_pack_b32_f16 v4, v4, v7
	ds_write2_b32 v6, v1, v4 offset1:3
	v_fma_f16 v1, v2, s4, v3
	v_fma_f16 v0, v5, s5, v0
	v_pack_b32_f16 v0, v1, v0
	v_mov_b32_e32 v4, 57
	ds_write_b32 v6, v0 offset:24
	v_mul_lo_u16_sdwa v0, v18, v4 dst_sel:DWORD dst_unused:UNUSED_PAD src0_sel:BYTE_0 src1_sel:DWORD
	v_lshrrev_b16_e32 v73, 9, v0
	v_mul_lo_u16_e32 v0, 9, v73
	v_sub_u16_e32 v74, v18, v0
	v_mov_b32_e32 v5, 9
	v_mul_u32_u24_sdwa v0, v74, v5 dst_sel:DWORD dst_unused:UNUSED_PAD src0_sel:BYTE_0 src1_sel:DWORD
	v_lshlrev_b32_e32 v76, 2, v0
	s_waitcnt lgkmcnt(0)
	s_barrier
	global_load_dwordx4 v[0:3], v76, s[8:9] offset:24
	v_mul_lo_u16_sdwa v4, v22, v4 dst_sel:DWORD dst_unused:UNUSED_PAD src0_sel:BYTE_0 src1_sel:DWORD
	v_lshrrev_b16_e32 v43, 9, v4
	v_mul_lo_u16_e32 v4, 9, v43
	v_sub_u16_e32 v72, v22, v4
	v_mul_u32_u24_sdwa v4, v72, v5 dst_sel:DWORD dst_unused:UNUSED_PAD src0_sel:BYTE_0 src1_sel:DWORD
	v_lshlrev_b32_e32 v77, 2, v4
	global_load_dwordx4 v[4:7], v77, s[8:9] offset:24
	s_mov_b32 s10, 0xe38f
	v_mul_u32_u24_sdwa v8, v32, s10 dst_sel:DWORD dst_unused:UNUSED_PAD src0_sel:WORD_0 src1_sel:DWORD
	v_lshrrev_b32_e32 v41, 19, v8
	v_mul_lo_u16_e32 v8, 9, v41
	v_sub_u16_e32 v42, v32, v8
	v_mul_u32_u24_e32 v8, 9, v42
	v_lshlrev_b32_e32 v75, 2, v8
	global_load_dwordx4 v[12:15], v75, s[8:9] offset:24
	global_load_dwordx4 v[8:11], v76, s[8:9] offset:40
	ds_read_b32 v81, v65
	ds_read_b32 v80, v113
	;; [unrolled: 1-line block ×3, first 2 shown]
	ds_read_u16 v79, v123 offset:2
	ds_read_b32 v82, v67
	s_waitcnt lgkmcnt(4)
	v_lshrrev_b32_e32 v83, 16, v81
	ds_read2_b32 v[88:89], v40 offset0:48 offset1:156
	global_load_dword v40, v76, s[8:9] offset:56
	ds_read2_b32 v[90:91], v64 offset0:56 offset1:164
	s_movk_i32 s10, 0x38b4
	ds_read_b32 v125, v44
	v_mul_u32_u24_e32 v43, 0x168, v43
	v_lshlrev_b32_sdwa v72, v71, v72 dst_sel:DWORD dst_unused:UNUSED_PAD src0_sel:DWORD src1_sel:BYTE_0
	v_add3_u32 v43, 0, v43, v72
	v_mul_u32_u24_e32 v41, 0x168, v41
	v_lshlrev_b32_e32 v42, 2, v42
	v_add3_u32 v41, 0, v41, v42
	s_waitcnt vmcnt(4)
	v_mul_f16_sdwa v84, v0, v83 dst_sel:DWORD dst_unused:UNUSED_PAD src0_sel:WORD_1 src1_sel:DWORD
	v_fma_f16 v92, v0, v81, v84
	global_load_dwordx4 v[84:87], v77, s[8:9] offset:40
	v_mul_f16_sdwa v81, v0, v81 dst_sel:DWORD dst_unused:UNUSED_PAD src0_sel:WORD_1 src1_sel:DWORD
	v_fma_f16 v83, v0, v83, -v81
	s_waitcnt lgkmcnt(6)
	v_lshrrev_b32_e32 v0, 16, v80
	v_mul_f16_sdwa v81, v1, v0 dst_sel:DWORD dst_unused:UNUSED_PAD src0_sel:WORD_1 src1_sel:DWORD
	v_fma_f16 v93, v1, v80, v81
	v_mul_f16_sdwa v80, v1, v80 dst_sel:DWORD dst_unused:UNUSED_PAD src0_sel:WORD_1 src1_sel:DWORD
	v_fma_f16 v94, v1, v0, -v80
	ds_read2_b32 v[0:1], v53 offset0:16 offset1:124
	s_waitcnt lgkmcnt(5)
	v_mul_f16_sdwa v80, v79, v2 dst_sel:DWORD dst_unused:UNUSED_PAD src0_sel:DWORD src1_sel:WORD_1
	v_fma_f16 v95, v2, v78, v80
	v_mul_f16_sdwa v78, v2, v78 dst_sel:DWORD dst_unused:UNUSED_PAD src0_sel:WORD_1 src1_sel:DWORD
	v_fma_f16 v96, v79, v2, -v78
	s_waitcnt lgkmcnt(0)
	v_lshrrev_b32_e32 v2, 16, v0
	v_mul_f16_sdwa v78, v0, v3 dst_sel:DWORD dst_unused:UNUSED_PAD src0_sel:DWORD src1_sel:WORD_1
	v_fma_f16 v97, v2, v3, -v78
	global_load_dwordx4 v[78:81], v75, s[8:9] offset:40
	v_mul_f16_sdwa v2, v2, v3 dst_sel:DWORD dst_unused:UNUSED_PAD src0_sel:DWORD src1_sel:WORD_1
	global_load_dword v75, v75, s[8:9] offset:56
	v_fma_f16 v98, v0, v3, v2
	v_lshrrev_b32_e32 v0, 16, v1
	s_waitcnt vmcnt(6)
	v_mul_f16_sdwa v2, v0, v7 dst_sel:DWORD dst_unused:UNUSED_PAD src0_sel:DWORD src1_sel:WORD_1
	v_fma_f16 v76, v1, v7, v2
	v_mul_f16_sdwa v1, v1, v7 dst_sel:DWORD dst_unused:UNUSED_PAD src0_sel:DWORD src1_sel:WORD_1
	v_fma_f16 v99, v0, v7, -v1
	v_add_u32_e32 v0, 0xa00, v44
	ds_read2_b32 v[0:1], v0 offset0:116 offset1:224
	v_lshrrev_b32_e32 v2, 16, v88
	v_mul_f16_sdwa v3, v88, v4 dst_sel:DWORD dst_unused:UNUSED_PAD src0_sel:DWORD src1_sel:WORD_1
	v_fma_f16 v100, v2, v4, -v3
	v_mul_f16_sdwa v2, v2, v4 dst_sel:DWORD dst_unused:UNUSED_PAD src0_sel:DWORD src1_sel:WORD_1
	v_fma_f16 v88, v88, v4, v2
	s_waitcnt lgkmcnt(0)
	v_lshrrev_b32_e32 v2, 16, v0
	v_mul_f16_sdwa v3, v0, v5 dst_sel:DWORD dst_unused:UNUSED_PAD src0_sel:DWORD src1_sel:WORD_1
	v_fma_f16 v101, v2, v5, -v3
	v_mul_f16_sdwa v2, v2, v5 dst_sel:DWORD dst_unused:UNUSED_PAD src0_sel:DWORD src1_sel:WORD_1
	v_fma_f16 v102, v0, v5, v2
	v_lshrrev_b32_e32 v0, 16, v90
	v_mul_f16_sdwa v2, v90, v6 dst_sel:DWORD dst_unused:UNUSED_PAD src0_sel:DWORD src1_sel:WORD_1
	v_fma_f16 v103, v0, v6, -v2
	v_mul_f16_sdwa v0, v0, v6 dst_sel:DWORD dst_unused:UNUSED_PAD src0_sel:DWORD src1_sel:WORD_1
	v_fma_f16 v90, v90, v6, v0
	v_lshrrev_b32_e32 v0, 16, v89
	s_waitcnt vmcnt(5)
	v_mul_f16_sdwa v2, v0, v12 dst_sel:DWORD dst_unused:UNUSED_PAD src0_sel:DWORD src1_sel:WORD_1
	v_fma_f16 v3, v89, v12, v2
	v_mul_f16_sdwa v2, v89, v12 dst_sel:DWORD dst_unused:UNUSED_PAD src0_sel:DWORD src1_sel:WORD_1
	v_fma_f16 v2, v0, v12, -v2
	v_lshrrev_b32_e32 v0, 16, v1
	v_mul_f16_sdwa v4, v0, v13 dst_sel:DWORD dst_unused:UNUSED_PAD src0_sel:DWORD src1_sel:WORD_1
	v_fma_f16 v7, v1, v13, v4
	v_mul_f16_sdwa v1, v1, v13 dst_sel:DWORD dst_unused:UNUSED_PAD src0_sel:DWORD src1_sel:WORD_1
	v_fma_f16 v6, v0, v13, -v1
	ds_read2_b32 v[0:1], v59 offset0:104 offset1:212
	v_lshrrev_b32_e32 v4, 16, v91
	v_mul_f16_sdwa v12, v91, v14 dst_sel:DWORD dst_unused:UNUSED_PAD src0_sel:DWORD src1_sel:WORD_1
	v_mul_f16_sdwa v5, v4, v14 dst_sel:DWORD dst_unused:UNUSED_PAD src0_sel:DWORD src1_sel:WORD_1
	v_fma_f16 v4, v4, v14, -v12
	s_waitcnt lgkmcnt(0)
	v_lshrrev_b32_e32 v13, 16, v0
	v_mul_f16_sdwa v12, v0, v15 dst_sel:DWORD dst_unused:UNUSED_PAD src0_sel:DWORD src1_sel:WORD_1
	v_fma_f16 v12, v13, v15, -v12
	v_mul_f16_sdwa v13, v13, v15 dst_sel:DWORD dst_unused:UNUSED_PAD src0_sel:DWORD src1_sel:WORD_1
	v_fma_f16 v5, v91, v14, v5
	v_fma_f16 v13, v0, v15, v13
	ds_read2_b32 v[14:15], v39 offset0:24 offset1:132
	v_lshrrev_b32_e32 v0, 16, v1
	s_waitcnt vmcnt(4)
	v_mul_f16_sdwa v89, v0, v8 dst_sel:DWORD dst_unused:UNUSED_PAD src0_sel:DWORD src1_sel:WORD_1
	v_fma_f16 v89, v1, v8, v89
	v_mul_f16_sdwa v1, v1, v8 dst_sel:DWORD dst_unused:UNUSED_PAD src0_sel:DWORD src1_sel:WORD_1
	v_fma_f16 v91, v0, v8, -v1
	s_waitcnt lgkmcnt(0)
	v_lshrrev_b32_e32 v8, 16, v14
	ds_read2_b32 v[0:1], v60 offset0:112 offset1:220
	v_mul_f16_sdwa v104, v14, v9 dst_sel:DWORD dst_unused:UNUSED_PAD src0_sel:DWORD src1_sel:WORD_1
	v_fma_f16 v104, v8, v9, -v104
	v_mul_f16_sdwa v8, v8, v9 dst_sel:DWORD dst_unused:UNUSED_PAD src0_sel:DWORD src1_sel:WORD_1
	v_fma_f16 v14, v14, v9, v8
	ds_read2_b32 v[8:9], v23 offset0:32 offset1:140
	s_waitcnt lgkmcnt(1)
	v_lshrrev_b32_e32 v105, 16, v1
	v_mul_f16_sdwa v106, v1, v10 dst_sel:DWORD dst_unused:UNUSED_PAD src0_sel:DWORD src1_sel:WORD_1
	v_fma_f16 v106, v105, v10, -v106
	v_mul_f16_sdwa v105, v105, v10 dst_sel:DWORD dst_unused:UNUSED_PAD src0_sel:DWORD src1_sel:WORD_1
	v_fma_f16 v105, v1, v10, v105
	s_waitcnt lgkmcnt(0)
	v_lshrrev_b32_e32 v1, 16, v8
	v_mul_f16_sdwa v10, v8, v11 dst_sel:DWORD dst_unused:UNUSED_PAD src0_sel:DWORD src1_sel:WORD_1
	v_fma_f16 v107, v1, v11, -v10
	v_mul_f16_sdwa v1, v1, v11 dst_sel:DWORD dst_unused:UNUSED_PAD src0_sel:DWORD src1_sel:WORD_1
	v_fma_f16 v108, v8, v11, v1
	v_lshrrev_b32_e32 v1, 16, v15
	s_waitcnt vmcnt(2)
	v_mul_f16_sdwa v8, v1, v85 dst_sel:DWORD dst_unused:UNUSED_PAD src0_sel:DWORD src1_sel:WORD_1
	v_fma_f16 v109, v15, v85, v8
	v_mul_f16_sdwa v8, v15, v85 dst_sel:DWORD dst_unused:UNUSED_PAD src0_sel:DWORD src1_sel:WORD_1
	v_fma_f16 v15, v1, v85, -v8
	v_lshrrev_b32_e32 v1, 16, v9
	ds_read2_b32 v[10:11], v62 offset0:64 offset1:172
	v_mul_f16_sdwa v8, v1, v87 dst_sel:DWORD dst_unused:UNUSED_PAD src0_sel:DWORD src1_sel:WORD_1
	v_fma_f16 v85, v9, v87, v8
	v_mul_f16_sdwa v8, v9, v87 dst_sel:DWORD dst_unused:UNUSED_PAD src0_sel:DWORD src1_sel:WORD_1
	v_fma_f16 v87, v1, v87, -v8
	ds_read2_b32 v[8:9], v52 offset0:72 offset1:180
	s_waitcnt lgkmcnt(1)
	v_lshrrev_b32_e32 v1, 16, v10
	v_mul_f16_sdwa v110, v10, v84 dst_sel:DWORD dst_unused:UNUSED_PAD src0_sel:DWORD src1_sel:WORD_1
	v_fma_f16 v110, v1, v84, -v110
	v_mul_f16_sdwa v1, v1, v84 dst_sel:DWORD dst_unused:UNUSED_PAD src0_sel:DWORD src1_sel:WORD_1
	v_fma_f16 v10, v10, v84, v1
	s_waitcnt lgkmcnt(0)
	v_lshrrev_b32_e32 v1, 16, v8
	v_mul_f16_sdwa v84, v8, v86 dst_sel:DWORD dst_unused:UNUSED_PAD src0_sel:DWORD src1_sel:WORD_1
	v_fma_f16 v84, v1, v86, -v84
	v_mul_f16_sdwa v1, v1, v86 dst_sel:DWORD dst_unused:UNUSED_PAD src0_sel:DWORD src1_sel:WORD_1
	v_fma_f16 v8, v8, v86, v1
	v_lshrrev_b32_e32 v1, 16, v11
	s_waitcnt vmcnt(1)
	v_mul_f16_sdwa v86, v1, v78 dst_sel:DWORD dst_unused:UNUSED_PAD src0_sel:DWORD src1_sel:WORD_1
	v_fma_f16 v86, v11, v78, v86
	v_mul_f16_sdwa v11, v11, v78 dst_sel:DWORD dst_unused:UNUSED_PAD src0_sel:DWORD src1_sel:WORD_1
	global_load_dword v77, v77, s[8:9] offset:56
	v_fma_f16 v11, v1, v78, -v11
	v_lshrrev_b32_e32 v1, 16, v0
	v_mul_f16_sdwa v78, v1, v79 dst_sel:DWORD dst_unused:UNUSED_PAD src0_sel:DWORD src1_sel:WORD_1
	v_fma_f16 v78, v0, v79, v78
	v_mul_f16_sdwa v0, v0, v79 dst_sel:DWORD dst_unused:UNUSED_PAD src0_sel:DWORD src1_sel:WORD_1
	v_fma_f16 v79, v1, v79, -v0
	ds_read2_b32 v[0:1], v55 offset0:120 offset1:228
	v_lshrrev_b32_e32 v111, 16, v9
	v_mul_f16_sdwa v112, v111, v80 dst_sel:DWORD dst_unused:UNUSED_PAD src0_sel:DWORD src1_sel:WORD_1
	v_fma_f16 v112, v9, v80, v112
	v_mul_f16_sdwa v9, v9, v80 dst_sel:DWORD dst_unused:UNUSED_PAD src0_sel:DWORD src1_sel:WORD_1
	v_fma_f16 v9, v111, v80, -v9
	s_waitcnt lgkmcnt(0)
	v_lshrrev_b32_e32 v80, 16, v0
	v_mul_f16_sdwa v111, v0, v81 dst_sel:DWORD dst_unused:UNUSED_PAD src0_sel:DWORD src1_sel:WORD_1
	v_fma_f16 v111, v80, v81, -v111
	v_mul_f16_sdwa v80, v80, v81 dst_sel:DWORD dst_unused:UNUSED_PAD src0_sel:DWORD src1_sel:WORD_1
	v_fma_f16 v80, v0, v81, v80
	v_lshrrev_b32_e32 v0, 16, v1
	v_mul_f16_sdwa v81, v0, v40 dst_sel:DWORD dst_unused:UNUSED_PAD src0_sel:DWORD src1_sel:WORD_1
	v_fma_f16 v81, v1, v40, v81
	v_mul_f16_sdwa v1, v1, v40 dst_sel:DWORD dst_unused:UNUSED_PAD src0_sel:DWORD src1_sel:WORD_1
	v_fma_f16 v40, v0, v40, -v1
	v_sub_f16_e32 v0, v93, v98
	v_sub_f16_e32 v1, v108, v14
	v_add_f16_e32 v113, v0, v1
	v_sub_f16_e32 v0, v94, v97
	v_sub_f16_e32 v1, v107, v104
	v_add_f16_e32 v114, v0, v1
	;; [unrolled: 3-line block ×4, first 2 shown]
	v_add_f16_e32 v1, v91, v106
	v_add_f16_e32 v0, v89, v105
	v_fma_f16 v120, v1, -0.5, v83
	v_sub_f16_e32 v121, v95, v81
	v_fma_f16 v117, v0, -0.5, v92
	v_sub_f16_e32 v118, v96, v40
	v_fma_f16 v1, v121, s14, v120
	v_sub_f16_e32 v122, v89, v105
	v_fma_f16 v0, v118, s11, v117
	;; [unrolled: 2-line block ×3, first 2 shown]
	v_fma_f16 v0, v119, s12, v0
	v_fma_f16 v1, v116, s13, v1
	;; [unrolled: 1-line block ×3, first 2 shown]
	v_mul_f16_e32 v123, 0xb8b4, v1
	v_mul_f16_e32 v1, 0x3a79, v1
	v_fma_f16 v123, v0, s15, v123
	v_fma_f16 v124, v0, s10, v1
	v_mul_u32_u24_e32 v0, 0x168, v73
	v_lshlrev_b32_sdwa v1, v71, v74 dst_sel:DWORD dst_unused:UNUSED_PAD src0_sel:DWORD src1_sel:BYTE_0
	v_add3_u32 v73, 0, v0, v1
	ds_read_b32 v74, v51
	v_add_f16_e32 v0, v125, v93
	v_add_f16_e32 v0, v0, v98
	;; [unrolled: 1-line block ×3, first 2 shown]
	v_lshrrev_b32_e32 v127, 16, v125
	v_add_f16_e32 v126, v0, v108
	v_add_f16_e32 v0, v127, v94
	;; [unrolled: 1-line block ×15, first 2 shown]
	v_pack_b32_f16 v131, v0, v1
	v_add_f16_e32 v0, v98, v14
	v_fma_f16 v132, v0, -0.5, v125
	v_sub_f16_e32 v133, v94, v107
	v_fma_f16 v0, v133, s11, v132
	v_sub_f16_e32 v134, v97, v104
	v_fma_f16 v0, v134, s12, v0
	v_fma_f16 v135, v113, s13, v0
	v_add_f16_e32 v0, v97, v104
	v_fma_f16 v136, v0, -0.5, v127
	v_sub_f16_e32 v137, v93, v108
	v_fma_f16 v0, v137, s14, v136
	v_sub_f16_e32 v138, v98, v14
	v_fma_f16 v0, v138, s10, v0
	v_fma_f16 v139, v114, s13, v0
	v_add_f16_e32 v0, v135, v123
	v_add_f16_e32 v1, v139, v124
	v_pack_b32_f16 v140, v0, v1
	ds_read2_b32 v[0:1], v54 offset0:80 offset1:188
	s_waitcnt lgkmcnt(0)
	s_barrier
	ds_write2_b32 v73, v131, v140 offset1:9
	v_add_f16_e32 v131, v93, v108
	v_fma_f16 v125, v131, -0.5, v125
	v_sub_f16_e32 v93, v98, v93
	v_sub_f16_e32 v14, v14, v108
	v_add_f16_e32 v14, v93, v14
	v_fma_f16 v93, v134, s14, v125
	v_fma_f16 v98, v134, s11, v125
	v_fma_f16 v93, v133, s12, v93
	v_fma_f16 v98, v133, s10, v98
	v_fma_f16 v93, v14, s13, v93
	v_fma_f16 v14, v14, s13, v98
	v_add_f16_e32 v98, v94, v107
	v_fma_f16 v98, v98, -0.5, v127
	v_sub_f16_e32 v94, v97, v94
	v_sub_f16_e32 v97, v104, v107
	v_add_f16_e32 v94, v94, v97
	v_fma_f16 v97, v138, s11, v98
	v_fma_f16 v98, v138, s14, v98
	v_fma_f16 v97, v137, s10, v97
	v_fma_f16 v98, v137, s12, v98
	v_fma_f16 v97, v94, s13, v97
	v_fma_f16 v94, v94, s13, v98
	;; [unrolled: 11-line block ×4, first 2 shown]
	v_mul_f16_e32 v83, 0xbb9c, v91
	v_mul_f16_e32 v91, 0x34f2, v91
	v_fma_f16 v83, v89, s13, v83
	v_fma_f16 v89, v89, s14, v91
	v_mul_f16_e32 v91, 0xbb9c, v40
	v_mul_f16_e32 v40, 0xb4f2, v40
	v_fma_f16 v91, v81, s16, v91
	v_fma_f16 v40, v81, s14, v40
	v_add_f16_e32 v81, v93, v83
	v_add_f16_e32 v92, v97, v89
	v_pack_b32_f16 v81, v81, v92
	v_add_f16_e32 v92, v14, v91
	v_add_f16_e32 v95, v94, v40
	v_fma_f16 v96, v121, s11, v120
	v_pack_b32_f16 v92, v92, v95
	v_fma_f16 v95, v118, s14, v117
	v_fma_f16 v96, v122, s12, v96
	ds_write2_b32 v73, v81, v92 offset0:18 offset1:27
	v_fma_f16 v81, v133, s14, v132
	v_fma_f16 v92, v137, s11, v136
	v_fma_f16 v95, v119, s10, v95
	v_fma_f16 v96, v116, s13, v96
	v_fma_f16 v81, v134, s10, v81
	v_fma_f16 v92, v138, s12, v92
	v_fma_f16 v95, v115, s13, v95
	v_mul_f16_e32 v98, 0xb8b4, v96
	v_mul_f16_e32 v96, 0xba79, v96
	v_fma_f16 v81, v113, s13, v81
	v_fma_f16 v92, v114, s13, v92
	;; [unrolled: 1-line block ×4, first 2 shown]
	v_sub_f16_e32 v96, v126, v129
	v_sub_f16_e32 v104, v128, v130
	v_add_f16_e32 v105, v81, v98
	v_add_f16_e32 v106, v92, v95
	v_pack_b32_f16 v105, v105, v106
	v_pack_b32_f16 v96, v96, v104
	ds_write2_b32 v73, v105, v96 offset0:36 offset1:45
	v_sub_f16_e32 v96, v135, v123
	v_sub_f16_e32 v83, v93, v83
	;; [unrolled: 1-line block ×4, first 2 shown]
	v_pack_b32_f16 v93, v96, v93
	v_pack_b32_f16 v83, v83, v89
	ds_write2_b32 v73, v93, v83 offset0:54 offset1:63
	v_sub_f16_e32 v14, v14, v91
	v_sub_f16_e32 v81, v81, v98
	;; [unrolled: 1-line block ×4, first 2 shown]
	v_pack_b32_f16 v14, v14, v40
	v_pack_b32_f16 v40, v81, v83
	ds_write2_b32 v73, v14, v40 offset0:72 offset1:81
	v_lshrrev_b32_e32 v14, 16, v0
	s_waitcnt vmcnt(0)
	v_mul_f16_sdwa v40, v0, v77 dst_sel:DWORD dst_unused:UNUSED_PAD src0_sel:DWORD src1_sel:WORD_1
	v_fma_f16 v40, v14, v77, -v40
	v_mul_f16_sdwa v14, v14, v77 dst_sel:DWORD dst_unused:UNUSED_PAD src0_sel:DWORD src1_sel:WORD_1
	v_fma_f16 v0, v0, v77, v14
	v_sub_f16_e32 v14, v102, v76
	v_sub_f16_e32 v73, v85, v109
	v_add_f16_e32 v14, v14, v73
	v_sub_f16_e32 v73, v101, v99
	v_sub_f16_e32 v77, v87, v15
	v_add_f16_e32 v73, v73, v77
	;; [unrolled: 3-line block ×4, first 2 shown]
	v_add_f16_e32 v81, v81, v83
	v_add_f16_e32 v83, v10, v8
	v_fma_f16 v93, v93, -0.5, v100
	v_sub_f16_e32 v94, v90, v0
	v_fma_f16 v83, v83, -0.5, v88
	v_sub_f16_e32 v89, v103, v40
	v_fma_f16 v95, v94, s14, v93
	v_sub_f16_e32 v96, v10, v8
	v_fma_f16 v91, v89, s11, v83
	;; [unrolled: 2-line block ×3, first 2 shown]
	v_fma_f16 v91, v92, s12, v91
	v_fma_f16 v95, v81, s13, v95
	;; [unrolled: 1-line block ×3, first 2 shown]
	v_mul_f16_e32 v97, 0xb8b4, v95
	v_mul_f16_e32 v95, 0x3a79, v95
	v_fma_f16 v97, v91, s15, v97
	v_fma_f16 v91, v91, s10, v95
	v_lshrrev_b32_e32 v95, 16, v74
	v_add_f16_e32 v72, v74, v102
	v_add_f16_e32 v98, v95, v101
	;; [unrolled: 1-line block ×18, first 2 shown]
	v_pack_b32_f16 v106, v106, v107
	v_add_f16_e32 v107, v76, v109
	v_add_f16_e32 v115, v99, v15
	v_fma_f16 v107, v107, -0.5, v74
	v_sub_f16_e32 v108, v101, v87
	v_fma_f16 v115, v115, -0.5, v95
	v_sub_f16_e32 v116, v102, v85
	v_fma_f16 v113, v108, s11, v107
	v_sub_f16_e32 v114, v99, v15
	v_fma_f16 v117, v116, s14, v115
	;; [unrolled: 2-line block ×3, first 2 shown]
	v_fma_f16 v117, v118, s10, v117
	v_fma_f16 v113, v14, s13, v113
	;; [unrolled: 1-line block ×3, first 2 shown]
	v_add_f16_e32 v119, v113, v97
	v_add_f16_e32 v120, v117, v91
	v_pack_b32_f16 v119, v119, v120
	ds_write2_b32 v43, v106, v119 offset1:9
	v_add_f16_e32 v106, v102, v85
	v_fma_f16 v74, v106, -0.5, v74
	v_sub_f16_e32 v76, v76, v102
	v_sub_f16_e32 v85, v109, v85
	v_add_f16_e32 v76, v76, v85
	v_fma_f16 v85, v114, s14, v74
	v_fma_f16 v74, v114, s11, v74
	;; [unrolled: 1-line block ×6, first 2 shown]
	v_add_f16_e32 v76, v101, v87
	v_fma_f16 v76, v76, -0.5, v95
	v_sub_f16_e32 v95, v99, v101
	v_sub_f16_e32 v15, v15, v87
	v_fma_f16 v87, v118, s11, v76
	v_fma_f16 v76, v118, s14, v76
	v_add_f16_e32 v15, v95, v15
	v_fma_f16 v87, v116, s10, v87
	v_fma_f16 v76, v116, s12, v76
	;; [unrolled: 1-line block ×4, first 2 shown]
	v_add_f16_e32 v76, v90, v0
	v_fma_f16 v76, v76, -0.5, v88
	v_sub_f16_e32 v10, v10, v90
	v_sub_f16_e32 v0, v8, v0
	v_add_f16_e32 v0, v10, v0
	v_fma_f16 v8, v92, s14, v76
	v_fma_f16 v10, v92, s11, v76
	v_fma_f16 v8, v89, s12, v8
	v_fma_f16 v10, v89, s10, v10
	v_fma_f16 v8, v0, s13, v8
	v_fma_f16 v0, v0, s13, v10
	v_add_f16_e32 v10, v103, v40
	v_fma_f16 v10, v10, -0.5, v100
	v_sub_f16_e32 v76, v110, v103
	v_sub_f16_e32 v40, v84, v40
	v_add_f16_e32 v40, v76, v40
	v_fma_f16 v76, v96, s11, v10
	v_fma_f16 v76, v94, s10, v76
	;; [unrolled: 1-line block ×6, first 2 shown]
	v_mul_f16_e32 v40, 0xbb9c, v76
	v_mul_f16_e32 v76, 0x34f2, v76
	v_fma_f16 v40, v8, s13, v40
	v_fma_f16 v8, v8, s14, v76
	v_mul_f16_e32 v76, 0xbb9c, v10
	v_mul_f16_e32 v10, 0xb4f2, v10
	v_fma_f16 v76, v0, s16, v76
	v_fma_f16 v0, v0, s14, v10
	v_add_f16_e32 v10, v85, v40
	v_add_f16_e32 v84, v87, v8
	v_pack_b32_f16 v10, v10, v84
	v_add_f16_e32 v84, v74, v76
	v_add_f16_e32 v88, v15, v0
	v_pack_b32_f16 v84, v84, v88
	ds_write2_b32 v43, v10, v84 offset0:18 offset1:27
	v_fma_f16 v10, v108, s14, v107
	v_fma_f16 v10, v114, s10, v10
	;; [unrolled: 1-line block ×12, first 2 shown]
	v_mul_f16_e32 v81, 0xb8b4, v77
	v_mul_f16_e32 v77, 0xba79, v77
	v_fma_f16 v81, v73, s17, v81
	v_fma_f16 v73, v73, s10, v77
	v_sub_f16_e32 v72, v72, v104
	v_sub_f16_e32 v77, v98, v105
	v_add_f16_e32 v83, v10, v81
	v_add_f16_e32 v84, v14, v73
	v_pack_b32_f16 v83, v83, v84
	v_pack_b32_f16 v72, v72, v77
	ds_write2_b32 v43, v83, v72 offset0:36 offset1:45
	v_sub_f16_e32 v72, v113, v97
	v_sub_f16_e32 v40, v85, v40
	;; [unrolled: 1-line block ×4, first 2 shown]
	v_pack_b32_f16 v72, v72, v77
	v_pack_b32_f16 v8, v40, v8
	ds_write2_b32 v43, v72, v8 offset0:54 offset1:63
	v_sub_f16_e32 v8, v74, v76
	v_sub_f16_e32 v10, v10, v81
	;; [unrolled: 1-line block ×4, first 2 shown]
	v_pack_b32_f16 v0, v8, v0
	v_pack_b32_f16 v8, v10, v14
	ds_write2_b32 v43, v0, v8 offset0:72 offset1:81
	v_lshrrev_b32_e32 v0, 16, v1
	v_mul_f16_sdwa v8, v0, v75 dst_sel:DWORD dst_unused:UNUSED_PAD src0_sel:DWORD src1_sel:WORD_1
	v_fma_f16 v8, v1, v75, v8
	v_mul_f16_sdwa v1, v1, v75 dst_sel:DWORD dst_unused:UNUSED_PAD src0_sel:DWORD src1_sel:WORD_1
	v_fma_f16 v0, v0, v75, -v1
	v_sub_f16_e32 v1, v7, v13
	v_sub_f16_e32 v10, v80, v78
	v_add_f16_e32 v1, v1, v10
	v_sub_f16_e32 v10, v6, v12
	v_sub_f16_e32 v14, v111, v79
	v_add_f16_e32 v10, v10, v14
	;; [unrolled: 3-line block ×4, first 2 shown]
	v_add_f16_e32 v15, v15, v40
	v_add_f16_e32 v40, v86, v112
	v_fma_f16 v74, v74, -0.5, v2
	v_sub_f16_e32 v75, v5, v8
	v_fma_f16 v40, v40, -0.5, v3
	v_sub_f16_e32 v43, v4, v0
	v_fma_f16 v76, v75, s14, v74
	v_sub_f16_e32 v77, v86, v112
	v_fma_f16 v72, v43, s11, v40
	v_sub_f16_e32 v73, v11, v9
	v_fma_f16 v76, v77, s10, v76
	v_fma_f16 v72, v73, s12, v72
	v_fma_f16 v76, v15, s13, v76
	;; [unrolled: 1-line block ×3, first 2 shown]
	v_mul_f16_e32 v81, 0xb8b4, v76
	v_mul_f16_e32 v76, 0x3a79, v76
	v_fma_f16 v81, v72, s15, v81
	v_fma_f16 v72, v72, s10, v76
	v_lshrrev_b32_e32 v76, 16, v82
	v_add_f16_e32 v42, v82, v7
	v_add_f16_e32 v83, v76, v6
	;; [unrolled: 1-line block ×18, first 2 shown]
	v_pack_b32_f16 v87, v87, v88
	v_add_f16_e32 v88, v13, v78
	v_add_f16_e32 v92, v12, v79
	v_fma_f16 v88, v88, -0.5, v82
	v_sub_f16_e32 v89, v6, v111
	v_fma_f16 v92, v92, -0.5, v76
	v_sub_f16_e32 v93, v7, v80
	v_fma_f16 v90, v89, s11, v88
	v_sub_f16_e32 v91, v12, v79
	v_fma_f16 v94, v93, s14, v92
	v_sub_f16_e32 v95, v13, v78
	v_fma_f16 v90, v91, s12, v90
	v_fma_f16 v94, v95, s10, v94
	v_fma_f16 v90, v1, s13, v90
	;; [unrolled: 1-line block ×3, first 2 shown]
	v_add_f16_e32 v96, v90, v81
	v_add_f16_e32 v97, v94, v72
	v_pack_b32_f16 v96, v96, v97
	ds_write2_b32 v41, v87, v96 offset1:9
	v_add_f16_e32 v87, v7, v80
	v_fma_f16 v82, v87, -0.5, v82
	v_sub_f16_e32 v7, v13, v7
	v_sub_f16_e32 v13, v78, v80
	v_add_f16_e32 v7, v7, v13
	v_fma_f16 v13, v91, s14, v82
	v_fma_f16 v78, v91, s11, v82
	v_fma_f16 v13, v89, s12, v13
	v_fma_f16 v78, v89, s10, v78
	v_fma_f16 v13, v7, s13, v13
	v_fma_f16 v7, v7, s13, v78
	v_add_f16_e32 v78, v6, v111
	v_fma_f16 v76, v78, -0.5, v76
	v_sub_f16_e32 v6, v12, v6
	v_sub_f16_e32 v12, v79, v111
	v_add_f16_e32 v6, v6, v12
	v_fma_f16 v12, v95, s11, v76
	v_fma_f16 v76, v95, s14, v76
	v_fma_f16 v12, v93, s10, v12
	v_fma_f16 v76, v93, s12, v76
	v_fma_f16 v12, v6, s13, v12
	v_fma_f16 v6, v6, s13, v76
	v_add_f16_e32 v76, v5, v8
	v_fma_f16 v3, v76, -0.5, v3
	v_sub_f16_e32 v5, v86, v5
	v_sub_f16_e32 v8, v112, v8
	v_add_f16_e32 v5, v5, v8
	v_fma_f16 v8, v73, s14, v3
	v_fma_f16 v3, v73, s11, v3
	v_fma_f16 v8, v43, s12, v8
	v_fma_f16 v3, v43, s10, v3
	v_fma_f16 v8, v5, s13, v8
	v_fma_f16 v3, v5, s13, v3
	v_add_f16_e32 v5, v4, v0
	v_fma_f16 v2, v5, -0.5, v2
	v_sub_f16_e32 v4, v11, v4
	v_sub_f16_e32 v0, v9, v0
	v_add_f16_e32 v0, v4, v0
	v_fma_f16 v4, v77, s11, v2
	v_fma_f16 v4, v75, s10, v4
	v_fma_f16 v2, v77, s14, v2
	v_fma_f16 v4, v0, s13, v4
	v_fma_f16 v2, v75, s12, v2
	v_fma_f16 v0, v0, s13, v2
	v_mul_f16_e32 v2, 0xbb9c, v4
	v_mul_f16_e32 v4, 0x34f2, v4
	v_fma_f16 v2, v8, s13, v2
	v_fma_f16 v4, v8, s14, v4
	v_mul_f16_e32 v5, 0xbb9c, v0
	v_mul_f16_e32 v0, 0xb4f2, v0
	v_fma_f16 v5, v3, s16, v5
	v_fma_f16 v0, v3, s14, v0
	v_add_f16_e32 v3, v13, v2
	v_add_f16_e32 v8, v12, v4
	v_pack_b32_f16 v3, v3, v8
	v_add_f16_e32 v8, v7, v5
	v_add_f16_e32 v9, v6, v0
	v_pack_b32_f16 v8, v8, v9
	ds_write2_b32 v41, v3, v8 offset0:18 offset1:27
	v_fma_f16 v3, v89, s14, v88
	v_fma_f16 v3, v91, s10, v3
	;; [unrolled: 1-line block ×12, first 2 shown]
	v_mul_f16_e32 v10, 0xb8b4, v9
	v_mul_f16_e32 v9, 0xba79, v9
	v_fma_f16 v10, v8, s17, v10
	v_fma_f16 v8, v8, s10, v9
	v_sub_f16_e32 v9, v42, v84
	v_sub_f16_e32 v11, v83, v85
	v_add_f16_e32 v14, v1, v10
	v_add_f16_e32 v15, v3, v8
	v_pack_b32_f16 v14, v14, v15
	v_pack_b32_f16 v9, v9, v11
	ds_write2_b32 v41, v14, v9 offset0:36 offset1:45
	v_sub_f16_e32 v9, v90, v81
	v_sub_f16_e32 v2, v13, v2
	;; [unrolled: 1-line block ×4, first 2 shown]
	v_pack_b32_f16 v9, v9, v11
	v_pack_b32_f16 v2, v2, v4
	ds_write2_b32 v41, v9, v2 offset0:54 offset1:63
	v_sub_f16_e32 v2, v7, v5
	v_sub_f16_e32 v1, v1, v10
	;; [unrolled: 1-line block ×4, first 2 shown]
	v_pack_b32_f16 v0, v2, v0
	v_pack_b32_f16 v1, v1, v3
	s_movk_i32 s10, 0x5a
	ds_write2_b32 v41, v0, v1 offset0:72 offset1:81
	v_add_u32_e32 v0, 0xffffffa6, v18
	v_cmp_gt_u32_e32 vcc, s10, v18
	v_mov_b32_e32 v41, 0
	s_waitcnt lgkmcnt(0)
	v_cndmask_b32_e32 v76, v0, v18, vcc
	v_mul_i32_i24_e32 v40, 5, v76
	v_lshl_add_u64 v[42:43], v[40:41], 2, s[8:9]
	s_barrier
	global_load_dwordx4 v[0:3], v[42:43], off offset:348
	global_load_dword v87, v[42:43], off offset:364
	s_movk_i32 s10, 0xb7
	v_mul_lo_u16_sdwa v4, v22, s10 dst_sel:DWORD dst_unused:UNUSED_PAD src0_sel:BYTE_0 src1_sel:DWORD
	v_lshrrev_b16_e32 v74, 14, v4
	v_mul_lo_u16_e32 v4, 0x5a, v74
	v_sub_u16_e32 v75, v22, v4
	v_mov_b32_e32 v4, 5
	v_mul_u32_u24_sdwa v4, v75, v4 dst_sel:DWORD dst_unused:UNUSED_PAD src0_sel:BYTE_0 src1_sel:DWORD
	v_lshlrev_b32_e32 v77, 2, v4
	global_load_dwordx4 v[4:7], v77, s[8:9] offset:348
	s_movk_i32 s10, 0x2d83
	v_mul_u32_u24_sdwa v8, v32, s10 dst_sel:DWORD dst_unused:UNUSED_PAD src0_sel:WORD_0 src1_sel:DWORD
	v_lshrrev_b32_e32 v72, 20, v8
	v_mul_lo_u16_e32 v8, 0x5a, v72
	v_sub_u16_e32 v73, v32, v8
	v_mul_u32_u24_e32 v8, 5, v73
	v_lshlrev_b32_e32 v78, 2, v8
	global_load_dwordx4 v[8:11], v78, s[8:9] offset:348
	v_mul_u32_u24_sdwa v12, v33, s10 dst_sel:DWORD dst_unused:UNUSED_PAD src0_sel:WORD_0 src1_sel:DWORD
	v_lshrrev_b32_e32 v40, 20, v12
	v_mul_lo_u16_e32 v12, 0x5a, v40
	v_sub_u16_e32 v33, v33, v12
	ds_read_b32 v80, v70
	ds_read_b32 v86, v63
	v_mul_u32_u24_e32 v12, 5, v33
	v_lshlrev_b32_e32 v79, 2, v12
	global_load_dwordx4 v[12:15], v79, s[8:9] offset:348
	ds_read2_b32 v[84:85], v64 offset0:56 offset1:164
	s_waitcnt lgkmcnt(2)
	v_lshrrev_b32_e32 v81, 16, v80
	v_lshlrev_b32_sdwa v71, v71, v75 dst_sel:DWORD dst_unused:UNUSED_PAD src0_sel:DWORD src1_sel:BYTE_0
	v_mul_u32_u24_e32 v74, 0x870, v74
	v_add3_u32 v71, 0, v74, v71
	v_mul_u32_u24_e32 v72, 0x870, v72
	v_lshlrev_b32_e32 v73, 2, v73
	v_add3_u32 v72, 0, v72, v73
	v_lshlrev_b32_e32 v33, 2, v33
	s_waitcnt vmcnt(4)
	v_mul_f16_sdwa v42, v0, v81 dst_sel:DWORD dst_unused:UNUSED_PAD src0_sel:WORD_1 src1_sel:DWORD
	v_fma_f16 v88, v0, v80, v42
	v_mul_f16_sdwa v42, v0, v80 dst_sel:DWORD dst_unused:UNUSED_PAD src0_sel:WORD_1 src1_sel:DWORD
	v_fma_f16 v89, v0, v81, -v42
	s_waitcnt lgkmcnt(0)
	v_lshrrev_b32_e32 v0, 16, v84
	v_mul_f16_sdwa v80, v1, v84 dst_sel:DWORD dst_unused:UNUSED_PAD src0_sel:WORD_1 src1_sel:DWORD
	v_fma_f16 v90, v1, v0, -v80
	v_mul_u32_u24_sdwa v80, v25, s10 dst_sel:DWORD dst_unused:UNUSED_PAD src0_sel:WORD_0 src1_sel:DWORD
	v_lshrrev_b32_e32 v92, 20, v80
	v_mul_lo_u16_e32 v80, 0x5a, v92
	v_sub_u16_e32 v25, v25, v80
	v_mul_u32_u24_e32 v80, 5, v25
	v_lshlrev_b32_e32 v93, 2, v80
	global_load_dwordx4 v[80:83], v93, s[8:9] offset:348
	ds_read2_b32 v[42:43], v59 offset0:104 offset1:212
	v_mul_f16_sdwa v0, v1, v0 dst_sel:DWORD dst_unused:UNUSED_PAD src0_sel:WORD_1 src1_sel:DWORD
	v_fma_f16 v84, v1, v84, v0
	ds_read2_b32 v[0:1], v60 offset0:112 offset1:220
	ds_read_u16 v94, v44 offset:6482
	ds_read_b32 v95, v51
	ds_read_b32 v96, v67
	;; [unrolled: 1-line block ×4, first 2 shown]
	global_load_dword v77, v77, s[8:9] offset:364
	s_waitcnt lgkmcnt(6)
	v_mul_f16_sdwa v91, v2, v43 dst_sel:DWORD dst_unused:UNUSED_PAD src0_sel:WORD_1 src1_sel:DWORD
	global_load_dword v78, v78, s[8:9] offset:364
	s_waitcnt lgkmcnt(4)
	v_fma_f16 v91, v94, v2, -v91
	global_load_dword v79, v79, s[8:9] offset:364
	v_mul_f16_sdwa v94, v94, v2 dst_sel:DWORD dst_unused:UNUSED_PAD src0_sel:DWORD src1_sel:WORD_1
	global_load_dword v93, v93, s[8:9] offset:364
	v_fma_f16 v43, v2, v43, v94
	v_lshrrev_b32_e32 v2, 16, v0
	v_mul_f16_sdwa v94, v0, v3 dst_sel:DWORD dst_unused:UNUSED_PAD src0_sel:DWORD src1_sel:WORD_1
	v_fma_f16 v94, v2, v3, -v94
	v_mul_f16_sdwa v2, v2, v3 dst_sel:DWORD dst_unused:UNUSED_PAD src0_sel:DWORD src1_sel:WORD_1
	v_fma_f16 v99, v0, v3, v2
	v_lshrrev_b32_e32 v0, 16, v85
	s_waitcnt vmcnt(7)
	v_mul_f16_sdwa v2, v0, v5 dst_sel:DWORD dst_unused:UNUSED_PAD src0_sel:DWORD src1_sel:WORD_1
	v_fma_f16 v100, v85, v5, v2
	v_mul_f16_sdwa v2, v85, v5 dst_sel:DWORD dst_unused:UNUSED_PAD src0_sel:DWORD src1_sel:WORD_1
	v_fma_f16 v5, v0, v5, -v2
	v_lshrrev_b32_e32 v0, 16, v1
	ds_read2_b32 v[2:3], v61 offset0:136 offset1:244
	v_mul_f16_sdwa v85, v0, v7 dst_sel:DWORD dst_unused:UNUSED_PAD src0_sel:DWORD src1_sel:WORD_1
	v_fma_f16 v85, v1, v7, v85
	v_mul_f16_sdwa v1, v1, v7 dst_sel:DWORD dst_unused:UNUSED_PAD src0_sel:DWORD src1_sel:WORD_1
	v_fma_f16 v7, v0, v7, -v1
	ds_read2_b32 v[0:1], v62 offset0:64 offset1:172
	s_waitcnt lgkmcnt(1)
	v_lshrrev_b32_e32 v101, 16, v2
	v_mul_f16_sdwa v102, v2, v4 dst_sel:DWORD dst_unused:UNUSED_PAD src0_sel:DWORD src1_sel:WORD_1
	v_fma_f16 v102, v101, v4, -v102
	v_mul_f16_sdwa v101, v101, v4 dst_sel:DWORD dst_unused:UNUSED_PAD src0_sel:DWORD src1_sel:WORD_1
	v_fma_f16 v4, v2, v4, v101
	s_waitcnt lgkmcnt(0)
	v_lshrrev_b32_e32 v2, 16, v0
	v_mul_f16_sdwa v101, v0, v6 dst_sel:DWORD dst_unused:UNUSED_PAD src0_sel:DWORD src1_sel:WORD_1
	v_fma_f16 v101, v2, v6, -v101
	v_mul_f16_sdwa v2, v2, v6 dst_sel:DWORD dst_unused:UNUSED_PAD src0_sel:DWORD src1_sel:WORD_1
	v_fma_f16 v6, v0, v6, v2
	v_lshrrev_b32_e32 v0, 16, v3
	s_waitcnt vmcnt(6)
	v_mul_f16_sdwa v2, v0, v8 dst_sel:DWORD dst_unused:UNUSED_PAD src0_sel:DWORD src1_sel:WORD_1
	v_fma_f16 v103, v3, v8, v2
	v_mul_f16_sdwa v2, v3, v8 dst_sel:DWORD dst_unused:UNUSED_PAD src0_sel:DWORD src1_sel:WORD_1
	v_fma_f16 v8, v0, v8, -v2
	v_lshrrev_b32_e32 v0, 16, v1
	ds_read2_b32 v[2:3], v53 offset0:16 offset1:124
	v_mul_f16_sdwa v104, v0, v10 dst_sel:DWORD dst_unused:UNUSED_PAD src0_sel:DWORD src1_sel:WORD_1
	v_fma_f16 v104, v1, v10, v104
	v_mul_f16_sdwa v1, v1, v10 dst_sel:DWORD dst_unused:UNUSED_PAD src0_sel:DWORD src1_sel:WORD_1
	v_fma_f16 v10, v0, v10, -v1
	ds_read2_b32 v[0:1], v52 offset0:72 offset1:180
	s_waitcnt lgkmcnt(1)
	v_lshrrev_b32_e32 v105, 16, v2
	v_mul_f16_sdwa v106, v2, v9 dst_sel:DWORD dst_unused:UNUSED_PAD src0_sel:DWORD src1_sel:WORD_1
	v_fma_f16 v106, v105, v9, -v106
	v_mul_f16_sdwa v105, v105, v9 dst_sel:DWORD dst_unused:UNUSED_PAD src0_sel:DWORD src1_sel:WORD_1
	v_fma_f16 v9, v2, v9, v105
	s_waitcnt lgkmcnt(0)
	;; [unrolled: 25-line block ×3, first 2 shown]
	v_lshrrev_b32_e32 v2, 16, v0
	v_mul_f16_sdwa v109, v0, v14 dst_sel:DWORD dst_unused:UNUSED_PAD src0_sel:DWORD src1_sel:WORD_1
	v_fma_f16 v109, v2, v14, -v109
	v_mul_f16_sdwa v2, v2, v14 dst_sel:DWORD dst_unused:UNUSED_PAD src0_sel:DWORD src1_sel:WORD_1
	v_fma_f16 v14, v0, v14, v2
	v_lshrrev_b32_e32 v0, 16, v3
	s_waitcnt vmcnt(4)
	v_mul_f16_sdwa v2, v0, v80 dst_sel:DWORD dst_unused:UNUSED_PAD src0_sel:DWORD src1_sel:WORD_1
	v_fma_f16 v111, v3, v80, v2
	v_mul_f16_sdwa v2, v3, v80 dst_sel:DWORD dst_unused:UNUSED_PAD src0_sel:DWORD src1_sel:WORD_1
	v_fma_f16 v80, v0, v80, -v2
	v_lshrrev_b32_e32 v0, 16, v42
	v_mul_f16_sdwa v2, v0, v81 dst_sel:DWORD dst_unused:UNUSED_PAD src0_sel:DWORD src1_sel:WORD_1
	v_fma_f16 v112, v42, v81, v2
	v_mul_f16_sdwa v2, v42, v81 dst_sel:DWORD dst_unused:UNUSED_PAD src0_sel:DWORD src1_sel:WORD_1
	v_fma_f16 v42, v0, v81, -v2
	ds_read2_b32 v[2:3], v23 offset0:32 offset1:140
	v_lshrrev_b32_e32 v0, 16, v1
	v_mul_f16_sdwa v81, v0, v82 dst_sel:DWORD dst_unused:UNUSED_PAD src0_sel:DWORD src1_sel:WORD_1
	v_fma_f16 v81, v1, v82, v81
	v_mul_f16_sdwa v1, v1, v82 dst_sel:DWORD dst_unused:UNUSED_PAD src0_sel:DWORD src1_sel:WORD_1
	v_fma_f16 v82, v0, v82, -v1
	s_waitcnt lgkmcnt(0)
	v_lshrrev_b32_e32 v0, 16, v2
	v_mul_f16_sdwa v1, v2, v83 dst_sel:DWORD dst_unused:UNUSED_PAD src0_sel:DWORD src1_sel:WORD_1
	v_fma_f16 v113, v0, v83, -v1
	v_mul_f16_sdwa v0, v0, v83 dst_sel:DWORD dst_unused:UNUSED_PAD src0_sel:DWORD src1_sel:WORD_1
	v_fma_f16 v83, v2, v83, v0
	v_lshrrev_b32_e32 v0, 16, v3
	v_mul_f16_sdwa v2, v3, v87 dst_sel:DWORD dst_unused:UNUSED_PAD src0_sel:DWORD src1_sel:WORD_1
	v_mul_f16_sdwa v1, v0, v87 dst_sel:DWORD dst_unused:UNUSED_PAD src0_sel:DWORD src1_sel:WORD_1
	v_fma_f16 v0, v0, v87, -v2
	v_lshrrev_b32_e32 v2, 16, v98
	v_fma_f16 v1, v3, v87, v1
	v_add_f16_e32 v3, v2, v90
	v_add_f16_e32 v87, v3, v94
	;; [unrolled: 1-line block ×3, first 2 shown]
	v_sub_f16_e32 v114, v90, v94
	v_fma_f16 v90, v3, -0.5, v2
	v_add_f16_e32 v2, v84, v99
	v_fma_f16 v94, v2, -0.5, v98
	v_add_f16_e32 v2, v98, v84
	v_add_f16_e32 v98, v2, v99
	;; [unrolled: 1-line block ×3, first 2 shown]
	v_sub_f16_e32 v84, v84, v99
	v_add_f16_e32 v99, v2, v0
	v_sub_f16_e32 v115, v91, v0
	v_add_f16_e32 v0, v91, v0
	v_fma_f16 v89, v0, -0.5, v89
	v_add_f16_e32 v0, v43, v1
	v_fma_f16 v91, v0, -0.5, v88
	v_add_f16_e32 v0, v88, v43
	v_sub_f16_e32 v43, v43, v1
	v_add_f16_e32 v88, v0, v1
	v_fma_f16 v1, v43, s5, v89
	v_fma_f16 v0, v115, s4, v91
	v_mul_f16_e32 v2, 0xbaee, v1
	v_mul_f16_e32 v1, -0.5, v1
	s_movk_i32 s10, 0x59
	v_fma_f16 v116, v0, -0.5, v2
	v_fma_f16 v117, v0, s4, v1
	v_mov_b32_e32 v0, 0x870
	v_cmp_lt_u32_e32 vcc, s10, v18
	v_lshlrev_b32_e32 v1, 2, v76
	v_fma_f16 v118, v114, s4, v94
	v_cndmask_b32_e32 v0, 0, v0, vcc
	v_fma_f16 v119, v84, s5, v90
	v_fma_f16 v43, v43, s4, v89
	v_add3_u32 v76, 0, v0, v1
	v_add_f16_e32 v0, v118, v116
	v_add_f16_e32 v1, v119, v117
	v_fma_f16 v84, v84, s4, v90
	v_fma_f16 v90, v115, s5, v91
	v_mul_f16_e32 v89, 0xbaee, v43
	v_mul_f16_e32 v43, 0.5, v43
	v_pack_b32_f16 v120, v0, v1
	v_sub_f16_e32 v0, v98, v88
	v_sub_f16_e32 v1, v87, v99
	v_fma_f16 v94, v114, s5, v94
	v_add_f16_e32 v88, v98, v88
	v_add_f16_e32 v87, v87, v99
	v_fma_f16 v89, v90, 0.5, v89
	v_fma_f16 v43, v90, s4, v43
	v_pack_b32_f16 v121, v0, v1
	ds_read2_b32 v[0:1], v55 offset0:120 offset1:228
	ds_read2_b32 v[2:3], v54 offset0:80 offset1:188
	v_pack_b32_f16 v87, v88, v87
	v_add_f16_e32 v88, v94, v89
	v_add_f16_e32 v90, v84, v43
	v_pack_b32_f16 v88, v88, v90
	s_waitcnt lgkmcnt(0)
	s_barrier
	ds_write2_b32 v76, v87, v88 offset1:90
	v_sub_f16_e32 v87, v94, v89
	v_sub_f16_e32 v88, v118, v116
	;; [unrolled: 1-line block ×4, first 2 shown]
	v_add_u32_e32 v122, 0x200, v76
	v_pack_b32_f16 v43, v87, v43
	v_pack_b32_f16 v84, v88, v84
	v_add_u32_e32 v76, 0x400, v76
	ds_write2_b32 v76, v43, v84 offset0:104 offset1:194
	v_lshrrev_b32_e32 v43, 16, v0
	s_waitcnt vmcnt(3)
	v_mul_f16_sdwa v76, v0, v77 dst_sel:DWORD dst_unused:UNUSED_PAD src0_sel:DWORD src1_sel:WORD_1
	v_fma_f16 v76, v43, v77, -v76
	v_mul_f16_sdwa v43, v43, v77 dst_sel:DWORD dst_unused:UNUSED_PAD src0_sel:DWORD src1_sel:WORD_1
	v_fma_f16 v0, v0, v77, v43
	v_add_f16_e32 v87, v102, v101
	v_add_f16_e32 v89, v6, v0
	v_lshrrev_b32_e32 v43, 16, v95
	v_add_f16_e32 v87, v87, v76
	v_sub_f16_e32 v88, v101, v76
	v_add_f16_e32 v76, v101, v76
	v_fma_f16 v89, v89, -0.5, v4
	v_add_f16_e32 v4, v4, v6
	v_add_f16_e32 v77, v43, v5
	v_sub_f16_e32 v84, v5, v7
	v_add_f16_e32 v5, v5, v7
	v_fma_f16 v76, v76, -0.5, v102
	v_add_f16_e32 v4, v4, v0
	v_sub_f16_e32 v0, v6, v0
	v_add_f16_e32 v77, v77, v7
	v_fma_f16 v5, v5, -0.5, v43
	v_add_f16_e32 v7, v100, v85
	v_add_f16_e32 v43, v95, v100
	v_fma_f16 v90, v0, s5, v76
	v_fma_f16 v7, v7, -0.5, v95
	v_add_f16_e32 v43, v43, v85
	v_sub_f16_e32 v85, v100, v85
	v_fma_f16 v6, v88, s4, v89
	v_mul_f16_e32 v91, 0xbaee, v90
	v_mul_f16_e32 v90, -0.5, v90
	v_fma_f16 v91, v6, -0.5, v91
	v_fma_f16 v6, v6, s4, v90
	v_fma_f16 v74, v84, s4, v7
	;; [unrolled: 1-line block ×4, first 2 shown]
	v_add_f16_e32 v90, v74, v91
	v_add_f16_e32 v94, v75, v6
	v_fma_f16 v7, v84, s5, v7
	v_fma_f16 v84, v88, s5, v89
	v_mul_f16_e32 v76, 0xbaee, v0
	v_mul_f16_e32 v0, 0.5, v0
	v_pack_b32_f16 v90, v90, v94
	v_sub_f16_e32 v94, v43, v4
	v_fma_f16 v5, v85, s4, v5
	v_add_f16_e32 v4, v43, v4
	v_add_f16_e32 v43, v77, v87
	v_fma_f16 v76, v84, 0.5, v76
	v_fma_f16 v0, v84, s4, v0
	v_sub_f16_e32 v95, v77, v87
	v_pack_b32_f16 v4, v4, v43
	v_add_f16_e32 v43, v7, v76
	v_add_f16_e32 v77, v5, v0
	v_pack_b32_f16 v43, v43, v77
	ds_write2_b32 v122, v120, v121 offset0:52 offset1:142
	ds_write2_b32 v71, v4, v43 offset1:90
	v_sub_f16_e32 v4, v7, v76
	v_sub_f16_e32 v7, v74, v91
	;; [unrolled: 1-line block ×4, first 2 shown]
	v_pack_b32_f16 v0, v4, v0
	v_pack_b32_f16 v4, v7, v5
	v_add_u32_e32 v5, 0x400, v71
	ds_write2_b32 v5, v0, v4 offset0:104 offset1:194
	v_lshrrev_b32_e32 v0, 16, v1
	s_waitcnt vmcnt(2)
	v_mul_f16_sdwa v4, v0, v78 dst_sel:DWORD dst_unused:UNUSED_PAD src0_sel:DWORD src1_sel:WORD_1
	v_fma_f16 v4, v1, v78, v4
	v_mul_f16_sdwa v1, v1, v78 dst_sel:DWORD dst_unused:UNUSED_PAD src0_sel:DWORD src1_sel:WORD_1
	v_fma_f16 v0, v0, v78, -v1
	v_lshrrev_b32_e32 v1, 16, v96
	v_add_f16_e32 v7, v106, v105
	v_add_f16_e32 v43, v96, v9
	;; [unrolled: 1-line block ×3, first 2 shown]
	v_fma_f16 v1, v7, -0.5, v1
	v_add_f16_e32 v7, v9, v11
	v_add_f16_e32 v43, v43, v11
	v_sub_f16_e32 v9, v9, v11
	v_add_f16_e32 v11, v8, v10
	v_pack_b32_f16 v94, v94, v95
	v_add_u32_e32 v95, 0x200, v71
	v_add_f16_e32 v11, v11, v0
	v_sub_f16_e32 v71, v10, v0
	v_add_f16_e32 v0, v10, v0
	v_add_f16_e32 v10, v103, v104
	v_fma_f16 v0, v0, -0.5, v8
	v_add_f16_e32 v8, v104, v4
	v_add_f16_e32 v10, v10, v4
	v_sub_f16_e32 v4, v104, v4
	v_sub_f16_e32 v6, v106, v105
	v_fma_f16 v7, v7, -0.5, v96
	v_fma_f16 v8, v8, -0.5, v103
	v_fma_f16 v75, v4, s5, v0
	v_fma_f16 v0, v4, s4, v0
	v_add_f16_e32 v5, v5, v105
	v_fma_f16 v74, v71, s4, v8
	v_mul_f16_e32 v76, 0xbaee, v75
	v_mul_f16_e32 v75, -0.5, v75
	v_fma_f16 v73, v6, s4, v7
	v_fma_f16 v6, v6, s5, v7
	;; [unrolled: 1-line block ×3, first 2 shown]
	v_mul_f16_e32 v8, 0xbaee, v0
	v_mul_f16_e32 v0, 0.5, v0
	v_fma_f16 v76, v74, -0.5, v76
	v_fma_f16 v74, v74, s4, v75
	v_fma_f16 v75, v9, s5, v1
	v_sub_f16_e32 v84, v5, v11
	v_fma_f16 v1, v9, s4, v1
	v_add_f16_e32 v4, v43, v10
	v_add_f16_e32 v5, v5, v11
	v_fma_f16 v8, v7, 0.5, v8
	v_fma_f16 v0, v7, s4, v0
	v_pack_b32_f16 v4, v4, v5
	v_add_f16_e32 v5, v6, v8
	v_add_f16_e32 v7, v1, v0
	v_pack_b32_f16 v5, v5, v7
	ds_write2_b32 v95, v90, v94 offset0:52 offset1:142
	ds_write2_b32 v72, v4, v5 offset1:90
	v_sub_f16_e32 v4, v6, v8
	v_sub_f16_e32 v5, v73, v76
	;; [unrolled: 1-line block ×4, first 2 shown]
	v_pack_b32_f16 v0, v4, v0
	v_pack_b32_f16 v1, v5, v1
	v_add_u32_e32 v4, 0x400, v72
	ds_write2_b32 v4, v0, v1 offset0:104 offset1:194
	v_lshrrev_b32_e32 v0, 16, v2
	s_waitcnt vmcnt(1)
	v_mul_f16_sdwa v1, v2, v79 dst_sel:DWORD dst_unused:UNUSED_PAD src0_sel:DWORD src1_sel:WORD_1
	v_fma_f16 v1, v0, v79, -v1
	v_mul_f16_sdwa v0, v0, v79 dst_sel:DWORD dst_unused:UNUSED_PAD src0_sel:DWORD src1_sel:WORD_1
	v_fma_f16 v0, v2, v79, v0
	v_add_f16_e32 v77, v73, v76
	v_add_f16_e32 v78, v75, v74
	;; [unrolled: 1-line block ×4, first 2 shown]
	v_pack_b32_f16 v77, v77, v78
	v_sub_f16_e32 v78, v43, v10
	v_add_f16_e32 v9, v9, v1
	v_sub_f16_e32 v10, v109, v1
	v_add_f16_e32 v1, v109, v1
	v_fma_f16 v11, v11, -0.5, v12
	v_add_f16_e32 v12, v12, v14
	v_lshrrev_b32_e32 v2, 16, v97
	v_fma_f16 v1, v1, -0.5, v110
	v_add_f16_e32 v12, v12, v0
	v_sub_f16_e32 v0, v14, v0
	v_add_f16_e32 v4, v2, v13
	v_add_f16_e32 v6, v13, v15
	v_fma_f16 v14, v0, s5, v1
	v_add_f16_e32 v4, v4, v15
	v_sub_f16_e32 v5, v13, v15
	v_fma_f16 v2, v6, -0.5, v2
	v_add_f16_e32 v6, v107, v108
	v_fma_f16 v13, v10, s4, v11
	v_mul_f16_e32 v15, 0xbaee, v14
	v_mul_f16_e32 v14, -0.5, v14
	v_fma_f16 v6, v6, -0.5, v97
	v_sub_f16_e32 v8, v107, v108
	v_fma_f16 v15, v13, -0.5, v15
	v_fma_f16 v13, v13, s4, v14
	v_mul_u32_u24_e32 v14, 0x870, v40
	v_add_f16_e32 v7, v97, v107
	v_add3_u32 v14, 0, v14, v33
	v_fma_f16 v33, v5, s4, v6
	v_fma_f16 v40, v8, s5, v2
	v_add_f16_e32 v7, v7, v108
	v_add_f16_e32 v43, v33, v15
	;; [unrolled: 1-line block ×3, first 2 shown]
	v_fma_f16 v0, v0, s4, v1
	v_pack_b32_f16 v43, v43, v71
	v_sub_f16_e32 v71, v7, v12
	v_fma_f16 v5, v5, s5, v6
	v_fma_f16 v6, v10, s5, v11
	v_add_f16_e32 v1, v7, v12
	v_mul_f16_e32 v7, 0xbaee, v0
	v_mul_f16_e32 v0, 0.5, v0
	v_pack_b32_f16 v78, v78, v84
	v_add_u32_e32 v84, 0x200, v72
	v_sub_f16_e32 v72, v4, v9
	v_fma_f16 v2, v8, s4, v2
	v_add_f16_e32 v4, v4, v9
	v_fma_f16 v7, v6, 0.5, v7
	v_fma_f16 v0, v6, s4, v0
	v_pack_b32_f16 v1, v1, v4
	v_add_f16_e32 v4, v5, v7
	v_add_f16_e32 v6, v2, v0
	v_pack_b32_f16 v4, v4, v6
	ds_write2_b32 v84, v77, v78 offset0:52 offset1:142
	ds_write2_b32 v14, v1, v4 offset1:90
	v_sub_f16_e32 v1, v5, v7
	v_sub_f16_e32 v4, v33, v15
	;; [unrolled: 1-line block ×4, first 2 shown]
	v_pack_b32_f16 v0, v1, v0
	v_pack_b32_f16 v1, v4, v2
	v_add_u32_e32 v2, 0x400, v14
	ds_write2_b32 v2, v0, v1 offset0:104 offset1:194
	v_lshrrev_b32_e32 v0, 16, v3
	s_waitcnt vmcnt(0)
	v_mul_f16_sdwa v2, v3, v93 dst_sel:DWORD dst_unused:UNUSED_PAD src0_sel:DWORD src1_sel:WORD_1
	v_mul_f16_sdwa v1, v0, v93 dst_sel:DWORD dst_unused:UNUSED_PAD src0_sel:DWORD src1_sel:WORD_1
	v_fma_f16 v0, v0, v93, -v2
	v_add_f16_e32 v8, v80, v82
	v_fma_f16 v1, v3, v93, v1
	v_add_f16_e32 v8, v8, v0
	v_sub_f16_e32 v9, v82, v0
	v_add_f16_e32 v0, v82, v0
	v_add_f16_e32 v11, v111, v81
	v_fma_f16 v0, v0, -0.5, v80
	v_add_f16_e32 v10, v81, v1
	v_add_f16_e32 v11, v11, v1
	v_sub_f16_e32 v1, v81, v1
	v_lshrrev_b32_e32 v2, 16, v86
	v_add_f16_e32 v5, v42, v113
	v_fma_f16 v10, v10, -0.5, v111
	v_fma_f16 v13, v1, s5, v0
	v_pack_b32_f16 v71, v71, v72
	v_add_u32_e32 v72, 0x200, v14
	v_add_f16_e32 v3, v2, v42
	v_fma_f16 v2, v5, -0.5, v2
	v_add_f16_e32 v5, v112, v83
	v_fma_f16 v12, v9, s4, v10
	v_mul_f16_e32 v14, 0xbaee, v13
	v_mul_f16_e32 v13, -0.5, v13
	v_sub_f16_e32 v4, v42, v113
	v_fma_f16 v5, v5, -0.5, v86
	v_sub_f16_e32 v7, v112, v83
	v_fma_f16 v14, v12, -0.5, v14
	v_fma_f16 v12, v12, s4, v13
	v_mul_u32_u24_e32 v13, 0x870, v92
	v_lshlrev_b32_e32 v15, 2, v25
	v_add_f16_e32 v6, v86, v112
	v_add3_u32 v13, 0, v13, v15
	v_fma_f16 v15, v4, s4, v5
	v_fma_f16 v25, v7, s5, v2
	v_add_f16_e32 v6, v6, v83
	v_add_f16_e32 v33, v15, v14
	;; [unrolled: 1-line block ×3, first 2 shown]
	v_fma_f16 v0, v1, s4, v0
	v_add_f16_e32 v3, v3, v113
	v_pack_b32_f16 v33, v33, v40
	v_sub_f16_e32 v40, v6, v11
	v_fma_f16 v4, v4, s5, v5
	v_fma_f16 v5, v9, s5, v10
	v_add_f16_e32 v1, v6, v11
	v_mul_f16_e32 v6, 0xbaee, v0
	v_mul_f16_e32 v0, 0.5, v0
	v_sub_f16_e32 v42, v3, v8
	v_fma_f16 v2, v7, s4, v2
	v_add_f16_e32 v3, v3, v8
	v_fma_f16 v6, v5, 0.5, v6
	v_fma_f16 v0, v5, s4, v0
	v_pack_b32_f16 v1, v1, v3
	v_add_f16_e32 v3, v4, v6
	v_add_f16_e32 v5, v2, v0
	v_pack_b32_f16 v3, v3, v5
	ds_write2_b32 v72, v43, v71 offset0:52 offset1:142
	ds_write2_b32 v13, v1, v3 offset1:90
	v_sub_f16_e32 v1, v4, v6
	v_sub_f16_e32 v3, v15, v14
	v_sub_f16_e32 v0, v2, v0
	v_sub_f16_e32 v2, v25, v12
	v_pack_b32_f16 v0, v1, v0
	v_pack_b32_f16 v1, v3, v2
	v_add_u32_e32 v2, 0x400, v13
	ds_write2_b32 v2, v0, v1 offset0:104 offset1:194
	v_mul_u32_u24_e32 v0, 5, v18
	v_pack_b32_f16 v40, v40, v42
	v_add_u32_e32 v42, 0x200, v13
	v_lshlrev_b32_e32 v1, 2, v0
	ds_write2_b32 v42, v33, v40 offset0:52 offset1:142
	s_waitcnt lgkmcnt(0)
	s_barrier
	global_load_dwordx4 v[2:5], v1, s[8:9] offset:2148
	v_mul_i32_i24_e32 v40, 5, v22
	v_lshl_add_u64 v[14:15], v[40:41], 2, s[8:9]
	global_load_dwordx4 v[6:9], v[14:15], off offset:2148
	v_mul_i32_i24_e32 v40, 5, v32
	v_lshl_add_u64 v[42:43], v[40:41], 2, s[8:9]
	global_load_dwordx4 v[10:13], v[42:43], off offset:2148
	v_mul_i32_i24_e32 v40, 5, v38
	v_lshl_add_u64 v[78:79], v[40:41], 2, s[8:9]
	ds_read_b32 v25, v70
	ds_read_b32 v0, v63
	global_load_dwordx4 v[70:73], v[78:79], off offset:2148
	ds_read2_b32 v[80:81], v64 offset0:56 offset1:164
	global_load_dword v42, v[42:43], off offset:2164
	s_waitcnt lgkmcnt(2)
	v_lshrrev_b32_e32 v33, 16, v25
	ds_read2_b32 v[82:83], v59 offset0:104 offset1:212
	global_load_dword v14, v[14:15], off offset:2164
	v_cmp_ne_u32_e32 vcc, 0, v18
	global_load_dword v1, v1, s[8:9] offset:2164
	s_waitcnt vmcnt(6)
	v_mul_f16_sdwa v40, v2, v33 dst_sel:DWORD dst_unused:UNUSED_PAD src0_sel:WORD_1 src1_sel:DWORD
	v_fma_f16 v64, v2, v25, v40
	v_mul_i32_i24_e32 v40, 5, v36
	v_mul_f16_sdwa v25, v2, v25 dst_sel:DWORD dst_unused:UNUSED_PAD src0_sel:WORD_1 src1_sel:DWORD
	v_lshl_add_u64 v[84:85], v[40:41], 2, s[8:9]
	v_fma_f16 v25, v2, v33, -v25
	s_waitcnt lgkmcnt(1)
	v_lshrrev_b32_e32 v2, 16, v80
	v_mul_f16_sdwa v33, v3, v80 dst_sel:DWORD dst_unused:UNUSED_PAD src0_sel:WORD_1 src1_sel:DWORD
	global_load_dwordx4 v[74:77], v[84:85], off offset:2148
	v_fma_f16 v33, v3, v2, -v33
	global_load_dword v78, v[78:79], off offset:2164
	v_mul_f16_sdwa v2, v3, v2 dst_sel:DWORD dst_unused:UNUSED_PAD src0_sel:WORD_1 src1_sel:DWORD
	v_fma_f16 v59, v3, v80, v2
	ds_read2_b32 v[2:3], v60 offset0:112 offset1:220
	s_waitcnt lgkmcnt(1)
	v_lshrrev_b32_e32 v80, 16, v83
	v_mul_f16_sdwa v86, v4, v83 dst_sel:DWORD dst_unused:UNUSED_PAD src0_sel:WORD_1 src1_sel:DWORD
	v_mul_f16_sdwa v60, v4, v80 dst_sel:DWORD dst_unused:UNUSED_PAD src0_sel:WORD_1 src1_sel:DWORD
	v_fma_f16 v40, v4, v80, -v86
	v_fma_f16 v60, v4, v83, v60
	s_waitcnt lgkmcnt(0)
	v_lshrrev_b32_e32 v4, 16, v2
	v_mul_f16_sdwa v80, v2, v5 dst_sel:DWORD dst_unused:UNUSED_PAD src0_sel:DWORD src1_sel:WORD_1
	v_fma_f16 v80, v4, v5, -v80
	v_mul_f16_sdwa v4, v4, v5 dst_sel:DWORD dst_unused:UNUSED_PAD src0_sel:DWORD src1_sel:WORD_1
	v_fma_f16 v83, v2, v5, v4
	v_lshrrev_b32_e32 v2, 16, v81
	s_waitcnt vmcnt(7)
	v_mul_f16_sdwa v4, v2, v7 dst_sel:DWORD dst_unused:UNUSED_PAD src0_sel:DWORD src1_sel:WORD_1
	v_fma_f16 v15, v81, v7, v4
	v_mul_f16_sdwa v4, v81, v7 dst_sel:DWORD dst_unused:UNUSED_PAD src0_sel:DWORD src1_sel:WORD_1
	v_fma_f16 v7, v2, v7, -v4
	v_lshrrev_b32_e32 v2, 16, v3
	ds_read2_b32 v[4:5], v61 offset0:136 offset1:244
	v_mul_f16_sdwa v61, v2, v9 dst_sel:DWORD dst_unused:UNUSED_PAD src0_sel:DWORD src1_sel:WORD_1
	v_fma_f16 v61, v3, v9, v61
	v_mul_f16_sdwa v3, v3, v9 dst_sel:DWORD dst_unused:UNUSED_PAD src0_sel:DWORD src1_sel:WORD_1
	v_fma_f16 v9, v2, v9, -v3
	ds_read2_b32 v[2:3], v62 offset0:64 offset1:172
	s_waitcnt lgkmcnt(1)
	v_lshrrev_b32_e32 v81, 16, v4
	v_mul_f16_sdwa v62, v4, v6 dst_sel:DWORD dst_unused:UNUSED_PAD src0_sel:DWORD src1_sel:WORD_1
	v_fma_f16 v62, v81, v6, -v62
	v_mul_f16_sdwa v81, v81, v6 dst_sel:DWORD dst_unused:UNUSED_PAD src0_sel:DWORD src1_sel:WORD_1
	v_fma_f16 v6, v4, v6, v81
	s_waitcnt lgkmcnt(0)
	v_lshrrev_b32_e32 v4, 16, v2
	v_mul_f16_sdwa v81, v2, v8 dst_sel:DWORD dst_unused:UNUSED_PAD src0_sel:DWORD src1_sel:WORD_1
	v_fma_f16 v81, v4, v8, -v81
	v_mul_f16_sdwa v4, v4, v8 dst_sel:DWORD dst_unused:UNUSED_PAD src0_sel:DWORD src1_sel:WORD_1
	v_fma_f16 v8, v2, v8, v4
	v_lshrrev_b32_e32 v2, 16, v5
	s_waitcnt vmcnt(6)
	v_mul_f16_sdwa v4, v2, v10 dst_sel:DWORD dst_unused:UNUSED_PAD src0_sel:DWORD src1_sel:WORD_1
	v_fma_f16 v43, v5, v10, v4
	v_mul_f16_sdwa v4, v5, v10 dst_sel:DWORD dst_unused:UNUSED_PAD src0_sel:DWORD src1_sel:WORD_1
	v_fma_f16 v10, v2, v10, -v4
	v_lshrrev_b32_e32 v2, 16, v3
	v_mul_f16_sdwa v79, v2, v12 dst_sel:DWORD dst_unused:UNUSED_PAD src0_sel:DWORD src1_sel:WORD_1
	ds_read2_b32 v[4:5], v53 offset0:16 offset1:124
	v_fma_f16 v53, v3, v12, v79
	global_load_dword v79, v[84:85], off offset:2164
	v_mul_f16_sdwa v3, v3, v12 dst_sel:DWORD dst_unused:UNUSED_PAD src0_sel:DWORD src1_sel:WORD_1
	v_fma_f16 v12, v2, v12, -v3
	ds_read2_b32 v[2:3], v52 offset0:72 offset1:180
	s_waitcnt lgkmcnt(1)
	v_lshrrev_b32_e32 v84, 16, v4
	v_mul_f16_sdwa v52, v4, v11 dst_sel:DWORD dst_unused:UNUSED_PAD src0_sel:DWORD src1_sel:WORD_1
	v_fma_f16 v52, v84, v11, -v52
	v_mul_f16_sdwa v84, v84, v11 dst_sel:DWORD dst_unused:UNUSED_PAD src0_sel:DWORD src1_sel:WORD_1
	v_fma_f16 v11, v4, v11, v84
	s_waitcnt lgkmcnt(0)
	v_lshrrev_b32_e32 v4, 16, v2
	v_mul_f16_sdwa v84, v2, v13 dst_sel:DWORD dst_unused:UNUSED_PAD src0_sel:DWORD src1_sel:WORD_1
	v_fma_f16 v84, v4, v13, -v84
	v_mul_f16_sdwa v4, v4, v13 dst_sel:DWORD dst_unused:UNUSED_PAD src0_sel:DWORD src1_sel:WORD_1
	v_fma_f16 v13, v2, v13, v4
	v_lshrrev_b32_e32 v2, 16, v5
	s_waitcnt vmcnt(6)
	v_mul_f16_sdwa v4, v2, v71 dst_sel:DWORD dst_unused:UNUSED_PAD src0_sel:DWORD src1_sel:WORD_1
	v_fma_f16 v85, v5, v71, v4
	v_mul_f16_sdwa v4, v5, v71 dst_sel:DWORD dst_unused:UNUSED_PAD src0_sel:DWORD src1_sel:WORD_1
	v_fma_f16 v71, v2, v71, -v4
	v_lshrrev_b32_e32 v2, 16, v3
	ds_read2_b32 v[4:5], v37 offset0:96 offset1:204
	v_mul_f16_sdwa v37, v2, v73 dst_sel:DWORD dst_unused:UNUSED_PAD src0_sel:DWORD src1_sel:WORD_1
	v_fma_f16 v37, v3, v73, v37
	v_mul_f16_sdwa v3, v3, v73 dst_sel:DWORD dst_unused:UNUSED_PAD src0_sel:DWORD src1_sel:WORD_1
	v_fma_f16 v73, v2, v73, -v3
	ds_read2_b32 v[2:3], v39 offset0:24 offset1:132
	s_waitcnt lgkmcnt(1)
	v_lshrrev_b32_e32 v86, 16, v4
	v_mul_f16_sdwa v39, v4, v70 dst_sel:DWORD dst_unused:UNUSED_PAD src0_sel:DWORD src1_sel:WORD_1
	v_fma_f16 v39, v86, v70, -v39
	v_mul_f16_sdwa v86, v86, v70 dst_sel:DWORD dst_unused:UNUSED_PAD src0_sel:DWORD src1_sel:WORD_1
	v_fma_f16 v70, v4, v70, v86
	s_waitcnt lgkmcnt(0)
	v_lshrrev_b32_e32 v4, 16, v2
	v_mul_f16_sdwa v86, v2, v72 dst_sel:DWORD dst_unused:UNUSED_PAD src0_sel:DWORD src1_sel:WORD_1
	v_fma_f16 v86, v4, v72, -v86
	v_mul_f16_sdwa v4, v4, v72 dst_sel:DWORD dst_unused:UNUSED_PAD src0_sel:DWORD src1_sel:WORD_1
	v_fma_f16 v72, v2, v72, v4
	v_lshrrev_b32_e32 v2, 16, v5
	s_waitcnt vmcnt(2)
	v_mul_f16_sdwa v4, v2, v74 dst_sel:DWORD dst_unused:UNUSED_PAD src0_sel:DWORD src1_sel:WORD_1
	v_fma_f16 v87, v5, v74, v4
	v_mul_f16_sdwa v4, v5, v74 dst_sel:DWORD dst_unused:UNUSED_PAD src0_sel:DWORD src1_sel:WORD_1
	v_fma_f16 v74, v2, v74, -v4
	v_lshrrev_b32_e32 v2, 16, v82
	v_mul_f16_sdwa v4, v2, v75 dst_sel:DWORD dst_unused:UNUSED_PAD src0_sel:DWORD src1_sel:WORD_1
	v_fma_f16 v88, v82, v75, v4
	v_mul_f16_sdwa v4, v82, v75 dst_sel:DWORD dst_unused:UNUSED_PAD src0_sel:DWORD src1_sel:WORD_1
	v_fma_f16 v75, v2, v75, -v4
	ds_read2_b32 v[4:5], v23 offset0:32 offset1:140
	v_lshrrev_b32_e32 v2, 16, v3
	v_mul_f16_sdwa v23, v2, v76 dst_sel:DWORD dst_unused:UNUSED_PAD src0_sel:DWORD src1_sel:WORD_1
	v_fma_f16 v23, v3, v76, v23
	v_mul_f16_sdwa v3, v3, v76 dst_sel:DWORD dst_unused:UNUSED_PAD src0_sel:DWORD src1_sel:WORD_1
	v_fma_f16 v76, v2, v76, -v3
	s_waitcnt lgkmcnt(0)
	v_lshrrev_b32_e32 v2, 16, v4
	v_mul_f16_sdwa v3, v4, v77 dst_sel:DWORD dst_unused:UNUSED_PAD src0_sel:DWORD src1_sel:WORD_1
	v_fma_f16 v82, v2, v77, -v3
	v_mul_f16_sdwa v2, v2, v77 dst_sel:DWORD dst_unused:UNUSED_PAD src0_sel:DWORD src1_sel:WORD_1
	v_fma_f16 v77, v4, v77, v2
	ds_read2_b32 v[2:3], v55 offset0:120 offset1:228
	v_lshrrev_b32_e32 v4, 16, v5
	v_mul_f16_sdwa v55, v4, v1 dst_sel:DWORD dst_unused:UNUSED_PAD src0_sel:DWORD src1_sel:WORD_1
	v_fma_f16 v55, v5, v1, v55
	v_mul_f16_sdwa v5, v5, v1 dst_sel:DWORD dst_unused:UNUSED_PAD src0_sel:DWORD src1_sel:WORD_1
	v_fma_f16 v1, v4, v1, -v5
	s_waitcnt lgkmcnt(0)
	v_lshrrev_b32_e32 v4, 16, v2
	v_mul_f16_sdwa v5, v2, v14 dst_sel:DWORD dst_unused:UNUSED_PAD src0_sel:DWORD src1_sel:WORD_1
	v_fma_f16 v89, v4, v14, -v5
	v_mul_f16_sdwa v4, v4, v14 dst_sel:DWORD dst_unused:UNUSED_PAD src0_sel:DWORD src1_sel:WORD_1
	v_fma_f16 v2, v2, v14, v4
	ds_read2_b32 v[4:5], v54 offset0:80 offset1:188
	v_lshrrev_b32_e32 v14, 16, v3
	v_mul_f16_sdwa v54, v14, v42 dst_sel:DWORD dst_unused:UNUSED_PAD src0_sel:DWORD src1_sel:WORD_1
	v_fma_f16 v54, v3, v42, v54
	v_mul_f16_sdwa v3, v3, v42 dst_sel:DWORD dst_unused:UNUSED_PAD src0_sel:DWORD src1_sel:WORD_1
	v_fma_f16 v3, v14, v42, -v3
	s_waitcnt lgkmcnt(0)
	v_lshrrev_b32_e32 v14, 16, v4
	s_waitcnt vmcnt(1)
	v_mul_f16_sdwa v42, v4, v78 dst_sel:DWORD dst_unused:UNUSED_PAD src0_sel:DWORD src1_sel:WORD_1
	v_fma_f16 v42, v14, v78, -v42
	v_mul_f16_sdwa v14, v14, v78 dst_sel:DWORD dst_unused:UNUSED_PAD src0_sel:DWORD src1_sel:WORD_1
	v_fma_f16 v4, v4, v78, v14
	v_lshrrev_b32_e32 v14, 16, v5
	s_waitcnt vmcnt(0)
	v_mul_f16_sdwa v78, v14, v79 dst_sel:DWORD dst_unused:UNUSED_PAD src0_sel:DWORD src1_sel:WORD_1
	v_fma_f16 v78, v5, v79, v78
	v_mul_f16_sdwa v5, v5, v79 dst_sel:DWORD dst_unused:UNUSED_PAD src0_sel:DWORD src1_sel:WORD_1
	v_fma_f16 v5, v14, v79, -v5
	ds_read_b32 v14, v44
	ds_read_b32 v79, v51
	;; [unrolled: 1-line block ×4, first 2 shown]
	v_add_f16_e32 v92, v59, v83
	s_waitcnt lgkmcnt(3)
	v_fma_f16 v92, v92, -0.5, v14
	v_sub_f16_e32 v93, v33, v80
	v_fma_f16 v94, v93, s5, v92
	v_fma_f16 v92, v93, s4, v92
	v_lshrrev_b32_e32 v93, 16, v14
	v_add_f16_e32 v95, v93, v33
	v_add_f16_e32 v33, v33, v80
	v_fma_f16 v33, v33, -0.5, v93
	v_add_f16_e32 v14, v14, v59
	v_sub_f16_e32 v59, v59, v83
	v_add_f16_e32 v95, v95, v80
	v_fma_f16 v80, v59, s4, v33
	v_fma_f16 v33, v59, s5, v33
	v_add_f16_e32 v59, v60, v55
	v_add_f16_e32 v14, v14, v83
	v_fma_f16 v59, v59, -0.5, v64
	v_sub_f16_e32 v83, v40, v1
	v_fma_f16 v93, v83, s5, v59
	v_fma_f16 v59, v83, s4, v59
	v_add_f16_e32 v83, v25, v40
	v_add_f16_e32 v83, v83, v1
	;; [unrolled: 1-line block ×3, first 2 shown]
	v_fma_f16 v1, v1, -0.5, v25
	v_add_f16_e32 v25, v64, v60
	v_sub_f16_e32 v40, v60, v55
	v_add_f16_e32 v25, v25, v55
	v_fma_f16 v55, v40, s4, v1
	v_fma_f16 v1, v40, s5, v1
	v_mul_f16_e32 v40, 0xbaee, v55
	v_mul_f16_e32 v55, 0.5, v55
	v_mul_f16_e32 v60, 0xbaee, v1
	v_mul_f16_e32 v1, -0.5, v1
	v_fma_f16 v55, v93, s4, v55
	v_fma_f16 v1, v59, s4, v1
	v_fma_f16 v40, v93, 0.5, v40
	v_add_f16_e32 v93, v80, v55
	v_sub_f16_e32 v55, v80, v55
	v_add_f16_e32 v80, v33, v1
	v_sub_f16_e32 v1, v33, v1
	v_add_f16_e32 v33, v15, v61
	v_fma_f16 v60, v59, -0.5, v60
	v_add_f16_e32 v59, v14, v25
	v_sub_f16_e32 v14, v14, v25
	v_add_f16_e32 v25, v94, v40
	v_sub_f16_e32 v40, v94, v40
	s_waitcnt lgkmcnt(2)
	v_fma_f16 v33, v33, -0.5, v79
	v_sub_f16_e32 v94, v7, v9
	v_add_f16_e32 v64, v92, v60
	v_sub_f16_e32 v60, v92, v60
	v_add_f16_e32 v92, v95, v83
	v_sub_f16_e32 v83, v95, v83
	v_fma_f16 v95, v94, s5, v33
	v_fma_f16 v33, v94, s4, v33
	v_lshrrev_b32_e32 v94, 16, v79
	v_add_f16_e32 v96, v94, v7
	v_add_f16_e32 v7, v7, v9
	;; [unrolled: 1-line block ×3, first 2 shown]
	v_fma_f16 v7, v7, -0.5, v94
	v_add_f16_e32 v9, v79, v15
	v_sub_f16_e32 v15, v15, v61
	v_add_f16_e32 v9, v9, v61
	v_fma_f16 v61, v15, s4, v7
	v_fma_f16 v7, v15, s5, v7
	v_add_f16_e32 v15, v8, v2
	v_fma_f16 v15, v15, -0.5, v6
	v_sub_f16_e32 v79, v81, v89
	v_fma_f16 v94, v79, s5, v15
	v_fma_f16 v15, v79, s4, v15
	v_add_f16_e32 v79, v62, v81
	v_add_f16_e32 v81, v81, v89
	;; [unrolled: 1-line block ×3, first 2 shown]
	v_fma_f16 v62, v81, -0.5, v62
	v_add_f16_e32 v6, v6, v2
	v_sub_f16_e32 v2, v8, v2
	v_fma_f16 v8, v2, s4, v62
	v_fma_f16 v2, v2, s5, v62
	v_mul_f16_e32 v62, 0xbaee, v8
	v_mul_f16_e32 v8, 0.5, v8
	v_mul_f16_e32 v81, 0xbaee, v2
	v_mul_f16_e32 v2, -0.5, v2
	v_fma_f16 v8, v94, s4, v8
	v_fma_f16 v2, v15, s4, v2
	v_fma_f16 v62, v94, 0.5, v62
	v_add_f16_e32 v94, v61, v8
	v_sub_f16_e32 v8, v61, v8
	v_add_f16_e32 v61, v7, v2
	v_sub_f16_e32 v2, v7, v2
	v_add_f16_e32 v7, v11, v13
	v_add_f16_e32 v79, v79, v89
	v_fma_f16 v81, v15, -0.5, v81
	v_add_f16_e32 v15, v9, v6
	v_sub_f16_e32 v6, v9, v6
	v_add_f16_e32 v9, v95, v62
	v_sub_f16_e32 v62, v95, v62
	s_waitcnt lgkmcnt(1)
	v_fma_f16 v7, v7, -0.5, v90
	v_sub_f16_e32 v95, v52, v84
	v_add_f16_e32 v89, v33, v81
	v_sub_f16_e32 v33, v33, v81
	v_add_f16_e32 v81, v96, v79
	v_sub_f16_e32 v79, v96, v79
	v_fma_f16 v96, v95, s5, v7
	v_fma_f16 v7, v95, s4, v7
	v_lshrrev_b32_e32 v95, 16, v90
	v_add_f16_e32 v97, v95, v52
	v_add_f16_e32 v52, v52, v84
	;; [unrolled: 1-line block ×3, first 2 shown]
	v_fma_f16 v52, v52, -0.5, v95
	v_add_f16_e32 v84, v90, v11
	v_sub_f16_e32 v11, v11, v13
	v_add_f16_e32 v84, v84, v13
	v_fma_f16 v13, v11, s4, v52
	v_fma_f16 v11, v11, s5, v52
	v_add_f16_e32 v52, v53, v54
	v_fma_f16 v52, v52, -0.5, v43
	v_sub_f16_e32 v90, v12, v3
	v_fma_f16 v95, v90, s5, v52
	v_fma_f16 v52, v90, s4, v52
	v_add_f16_e32 v90, v10, v12
	v_add_f16_e32 v90, v90, v3
	;; [unrolled: 1-line block ×3, first 2 shown]
	v_fma_f16 v3, v3, -0.5, v10
	v_sub_f16_e32 v12, v53, v54
	v_add_f16_e32 v10, v43, v53
	v_fma_f16 v43, v12, s4, v3
	v_fma_f16 v3, v12, s5, v3
	v_mul_f16_e32 v12, 0xbaee, v43
	v_mul_f16_e32 v43, 0.5, v43
	v_mul_f16_e32 v53, 0xbaee, v3
	v_mul_f16_e32 v3, -0.5, v3
	v_fma_f16 v43, v95, s4, v43
	v_fma_f16 v3, v52, s4, v3
	v_fma_f16 v12, v95, 0.5, v12
	v_add_f16_e32 v95, v13, v43
	v_sub_f16_e32 v13, v13, v43
	v_add_f16_e32 v43, v11, v3
	v_sub_f16_e32 v3, v11, v3
	v_pack_b32_f16 v11, v59, v92
	s_waitcnt lgkmcnt(0)
	s_barrier
	ds_write_b32 v44, v11
	v_pack_b32_f16 v11, v25, v93
	ds_write_b32 v44, v11 offset:2160
	v_pack_b32_f16 v11, v64, v80
	ds_write_b32 v44, v11 offset:4320
	v_pack_b32_f16 v11, v14, v83
	v_pack_b32_f16 v1, v60, v1
	ds_write_b32 v44, v11 offset:6480
	v_pack_b32_f16 v11, v40, v55
	ds_write_b32 v44, v1 offset:10800
	;; [unrolled: 2-line block ×3, first 2 shown]
	ds_write_b32 v51, v1
	v_pack_b32_f16 v1, v9, v94
	ds_write_b32 v51, v1 offset:2160
	v_pack_b32_f16 v1, v89, v61
	ds_write_b32 v51, v1 offset:4320
	v_pack_b32_f16 v1, v6, v79
	v_add_f16_e32 v10, v10, v54
	v_fma_f16 v53, v52, -0.5, v53
	ds_write_b32 v51, v1 offset:6480
	v_pack_b32_f16 v1, v62, v8
	v_add_f16_e32 v52, v84, v10
	v_sub_f16_e32 v10, v84, v10
	v_add_f16_e32 v84, v7, v53
	v_sub_f16_e32 v7, v7, v53
	v_add_f16_e32 v53, v97, v90
	ds_write_b32 v51, v1 offset:8640
	v_pack_b32_f16 v1, v33, v2
	v_add_f16_e32 v54, v96, v12
	ds_write_b32 v51, v1 offset:10800
	v_pack_b32_f16 v1, v52, v53
	ds_write_b32 v67, v1
	v_pack_b32_f16 v1, v54, v95
	v_sub_f16_e32 v90, v97, v90
	ds_write_b32 v67, v1 offset:2160
	v_pack_b32_f16 v1, v84, v43
	v_sub_f16_e32 v12, v96, v12
	ds_write_b32 v67, v1 offset:4320
	v_pack_b32_f16 v1, v10, v90
	ds_write_b32 v67, v1 offset:6480
	v_pack_b32_f16 v1, v12, v13
	;; [unrolled: 2-line block ×3, first 2 shown]
	ds_write_b32 v67, v1 offset:10800
	v_add_f16_e32 v1, v85, v37
	v_fma_f16 v1, v1, -0.5, v91
	v_sub_f16_e32 v2, v71, v73
	v_fma_f16 v3, v2, s5, v1
	v_fma_f16 v1, v2, s4, v1
	v_lshrrev_b32_e32 v2, 16, v91
	v_add_f16_e32 v7, v71, v73
	v_add_f16_e32 v6, v2, v71
	v_fma_f16 v2, v7, -0.5, v2
	v_sub_f16_e32 v8, v85, v37
	v_add_f16_e32 v12, v86, v42
	v_add_f16_e32 v13, v70, v72
	v_fma_f16 v9, v8, s4, v2
	v_fma_f16 v2, v8, s5, v2
	v_add_f16_e32 v8, v72, v4
	v_fma_f16 v12, v12, -0.5, v39
	v_add_f16_e32 v13, v13, v4
	v_sub_f16_e32 v4, v72, v4
	v_fma_f16 v8, v8, -0.5, v70
	v_sub_f16_e32 v10, v86, v42
	v_fma_f16 v14, v4, s4, v12
	v_fma_f16 v11, v10, s5, v8
	;; [unrolled: 1-line block ×3, first 2 shown]
	v_mul_f16_e32 v12, 0xbaee, v14
	v_mul_f16_e32 v14, 0.5, v14
	v_add_f16_e32 v7, v91, v85
	v_fma_f16 v8, v10, s4, v8
	v_add_f16_e32 v10, v39, v86
	v_fma_f16 v12, v11, 0.5, v12
	v_fma_f16 v11, v11, s4, v14
	v_mul_f16_e32 v14, 0xbaee, v4
	v_mul_f16_e32 v4, -0.5, v4
	v_add_f16_e32 v6, v6, v73
	v_add_f16_e32 v7, v7, v37
	;; [unrolled: 1-line block ×3, first 2 shown]
	v_fma_f16 v14, v8, -0.5, v14
	v_fma_f16 v4, v8, s4, v4
	v_add_f16_e32 v8, v7, v13
	v_sub_f16_e32 v7, v7, v13
	v_add_f16_e32 v13, v3, v12
	v_sub_f16_e32 v3, v3, v12
	v_add_f16_e32 v12, v1, v14
	v_sub_f16_e32 v1, v1, v14
	v_add_f16_e32 v14, v6, v10
	v_sub_f16_e32 v6, v6, v10
	v_add_f16_e32 v10, v9, v11
	v_sub_f16_e32 v9, v9, v11
	v_add_f16_e32 v11, v2, v4
	v_sub_f16_e32 v2, v2, v4
	v_add_f16_e32 v4, v88, v77
	v_fma_f16 v4, v4, -0.5, v0
	v_sub_f16_e32 v15, v75, v82
	v_fma_f16 v25, v15, s5, v4
	v_fma_f16 v4, v15, s4, v4
	v_lshrrev_b32_e32 v15, 16, v0
	v_add_f16_e32 v37, v75, v82
	v_add_f16_e32 v33, v15, v75
	v_fma_f16 v15, v37, -0.5, v15
	v_sub_f16_e32 v37, v88, v77
	v_fma_f16 v39, v37, s4, v15
	v_fma_f16 v15, v37, s5, v15
	v_add_f16_e32 v37, v23, v78
	v_fma_f16 v37, v37, -0.5, v87
	v_sub_f16_e32 v40, v76, v5
	v_fma_f16 v42, v40, s5, v37
	v_fma_f16 v37, v40, s4, v37
	v_add_f16_e32 v40, v74, v76
	v_add_f16_e32 v40, v40, v5
	;; [unrolled: 1-line block ×3, first 2 shown]
	v_fma_f16 v5, v5, -0.5, v74
	v_add_f16_e32 v43, v87, v23
	v_sub_f16_e32 v23, v23, v78
	v_fma_f16 v52, v23, s4, v5
	v_fma_f16 v5, v23, s5, v5
	v_mul_f16_e32 v23, 0xbaee, v52
	v_mul_f16_e32 v52, 0.5, v52
	v_add_f16_e32 v0, v0, v88
	v_fma_f16 v23, v42, 0.5, v23
	v_fma_f16 v42, v42, s4, v52
	v_mul_f16_e32 v52, 0xbaee, v5
	v_add_f16_e32 v33, v33, v82
	v_add_f16_e32 v0, v0, v77
	;; [unrolled: 1-line block ×3, first 2 shown]
	v_fma_f16 v52, v37, -0.5, v52
	v_mul_f16_e32 v5, -0.5, v5
	v_pack_b32_f16 v8, v8, v14
	v_fma_f16 v5, v37, s4, v5
	v_add_f16_e32 v37, v0, v43
	v_sub_f16_e32 v0, v0, v43
	v_add_f16_e32 v43, v25, v23
	v_sub_f16_e32 v23, v25, v23
	;; [unrolled: 2-line block ×4, first 2 shown]
	ds_write_b32 v65, v8
	v_pack_b32_f16 v8, v13, v10
	v_pack_b32_f16 v1, v1, v2
	v_add_f16_e32 v40, v39, v42
	v_sub_f16_e32 v39, v39, v42
	ds_write_b32 v65, v8 offset:2160
	v_pack_b32_f16 v8, v12, v11
	v_pack_b32_f16 v6, v7, v6
	;; [unrolled: 1-line block ×3, first 2 shown]
	ds_write_b32 v65, v1 offset:10800
	v_pack_b32_f16 v1, v37, v52
	v_pack_b32_f16 v0, v0, v33
	v_add_f16_e32 v42, v15, v5
	v_sub_f16_e32 v5, v15, v5
	ds_write_b32 v65, v8 offset:4320
	ds_write_b32 v65, v6 offset:6480
	;; [unrolled: 1-line block ×3, first 2 shown]
	ds_write_b32 v63, v1
	v_pack_b32_f16 v1, v43, v40
	ds_write_b32 v63, v0 offset:6480
	v_pack_b32_f16 v0, v23, v39
	ds_write_b32 v63, v1 offset:2160
	;; [unrolled: 2-line block ×4, first 2 shown]
	ds_write_b32 v63, v0 offset:10800
	s_waitcnt lgkmcnt(0)
	s_barrier
	ds_read_b32 v12, v44
	s_add_u32 s4, s8, 0x3294
	s_addc_u32 s5, s9, 0
	v_sub_u32_e32 v0, 0, v19
                                        ; implicit-def: $vgpr10
                                        ; implicit-def: $vgpr9
                                        ; implicit-def: $vgpr8
	s_and_saveexec_b64 s[8:9], vcc
	s_xor_b64 s[8:9], exec, s[8:9]
	s_cbranch_execz .LBB0_15
; %bb.14:
	v_mov_b32_e32 v19, v41
	v_lshl_add_u64 v[2:3], v[18:19], 2, s[4:5]
	global_load_dword v1, v[2:3], off
	ds_read_b32 v2, v0 offset:12960
	s_waitcnt lgkmcnt(0)
	v_sub_f16_e32 v5, v12, v2
	v_add_f16_e32 v3, v2, v12
	v_add_f16_sdwa v4, v2, v12 dst_sel:DWORD dst_unused:UNUSED_PAD src0_sel:WORD_1 src1_sel:WORD_1
	v_sub_f16_sdwa v2, v12, v2 dst_sel:DWORD dst_unused:UNUSED_PAD src0_sel:WORD_1 src1_sel:WORD_1
	v_mul_f16_e32 v5, 0.5, v5
	v_mul_f16_e32 v4, 0.5, v4
	;; [unrolled: 1-line block ×3, first 2 shown]
                                        ; implicit-def: $vgpr12
	s_waitcnt vmcnt(0)
	v_lshrrev_b32_e32 v6, 16, v1
	v_mul_f16_e32 v7, v6, v5
	v_fma_f16 v8, v4, v6, v2
	v_fma_f16 v2, v4, v6, -v2
	v_fma_f16 v6, v3, 0.5, v7
	v_fma_f16 v3, v3, 0.5, -v7
	v_fma_f16 v6, v1, v4, v6
	v_fma_f16 v8, -v1, v5, v8
	v_fma_f16 v9, -v1, v4, v3
	ds_write_b16 v44, v6
	v_fma_f16 v10, -v1, v5, v2
.LBB0_15:
	s_or_saveexec_b64 s[8:9], s[8:9]
	v_sub_u32_e32 v11, 0, v29
	v_sub_u32_e32 v7, 0, v56
	;; [unrolled: 1-line block ×8, first 2 shown]
	s_xor_b64 exec, exec, s[8:9]
	s_cbranch_execz .LBB0_17
; %bb.16:
	v_mov_b32_e32 v8, 0
	ds_read_u16 v10, v8 offset:6482
	s_waitcnt lgkmcnt(1)
	v_add_f16_sdwa v13, v12, v12 dst_sel:DWORD dst_unused:UNUSED_PAD src0_sel:WORD_1 src1_sel:DWORD
	v_sub_f16_sdwa v9, v12, v12 dst_sel:DWORD dst_unused:UNUSED_PAD src0_sel:DWORD src1_sel:WORD_1
	ds_write_b16 v44, v13
	s_waitcnt lgkmcnt(1)
	v_xor_b32_e32 v10, 0x8000, v10
	ds_write_b16 v8, v10 offset:6482
	v_mov_b32_e32 v10, 0
.LBB0_17:
	s_or_b64 exec, exec, s[8:9]
	v_mov_b32_e32 v23, 0
	s_waitcnt lgkmcnt(0)
	v_lshl_add_u64 v[12:13], v[22:23], 2, s[4:5]
	global_load_dword v19, v[12:13], off
	v_mov_b32_e32 v33, v23
	v_lshl_add_u64 v[12:13], v[32:33], 2, s[4:5]
	global_load_dword v22, v[12:13], off
	v_mov_b32_e32 v39, v23
	v_lshl_add_u64 v[12:13], v[38:39], 2, s[4:5]
	global_load_dword v32, v[12:13], off
	s_mov_b32 s9, 0x5040100
	ds_write_b16 v44, v8 offset:2
	v_perm_b32 v8, v10, v9, s9
	v_mov_b32_e32 v37, v23
	v_add_u32_e32 v33, v35, v11
	v_mov_b32_e32 v25, v23
	v_mov_b32_e32 v27, v23
	v_mov_b32_e32 v35, v23
	v_mov_b32_e32 v29, v23
	ds_write_b32 v0, v8 offset:12960
	v_lshl_add_u64 v[8:9], v[36:37], 2, s[4:5]
	v_lshl_add_u64 v[10:11], v[24:25], 2, s[4:5]
	;; [unrolled: 1-line block ×5, first 2 shown]
	ds_read_b32 v26, v51
	ds_read_b32 v27, v0 offset:12528
	global_load_dword v28, v[8:9], off
	global_load_dword v29, v[10:11], off
	;; [unrolled: 1-line block ×5, first 2 shown]
	s_mov_b32 s8, 0xffff
	v_add_u32_e32 v7, v50, v7
	v_add_u32_e32 v6, v49, v6
	s_waitcnt lgkmcnt(0)
	v_pk_add_f16 v8, v26, v27 neg_lo:[0,1] neg_hi:[0,1]
	v_pk_add_f16 v9, v26, v27
	v_add_u32_e32 v5, v48, v5
	v_bfi_b32 v10, s8, v8, v9
	v_bfi_b32 v8, s8, v9, v8
	v_pk_mul_f16 v9, v10, 0.5 op_sel_hi:[1,0]
	v_pk_mul_f16 v8, v8, 0.5 op_sel_hi:[1,0]
	v_add_u32_e32 v3, v47, v3
	v_add_u32_e32 v1, v45, v1
	s_waitcnt vmcnt(7)
	v_pk_fma_f16 v10, v19, v9, v8 op_sel:[1,0,0]
	v_pk_mul_f16 v11, v19, v9 op_sel_hi:[0,1]
	v_pk_fma_f16 v12, v19, v9, v8 op_sel:[1,0,0] neg_lo:[1,0,0] neg_hi:[1,0,0]
	v_pk_fma_f16 v8, v19, v9, v8 op_sel:[1,0,0] neg_lo:[0,0,1] neg_hi:[0,0,1]
	v_pk_add_f16 v9, v10, v11 op_sel:[0,1] op_sel_hi:[1,0]
	v_pk_add_f16 v10, v10, v11 op_sel:[0,1] op_sel_hi:[1,0] neg_lo:[0,1] neg_hi:[0,1]
	v_pk_add_f16 v12, v12, v11 op_sel:[0,1] op_sel_hi:[1,0] neg_lo:[0,1] neg_hi:[0,1]
	;; [unrolled: 1-line block ×3, first 2 shown]
	v_bfi_b32 v9, s8, v9, v10
	v_bfi_b32 v8, s8, v12, v8
	ds_write_b32 v51, v9
	ds_write_b32 v0, v8 offset:12528
	ds_read_b32 v8, v33
	ds_read_b32 v9, v0 offset:12096
	s_waitcnt lgkmcnt(0)
	v_pk_add_f16 v10, v8, v9 neg_lo:[0,1] neg_hi:[0,1]
	v_pk_add_f16 v8, v8, v9
	s_nop 0
	v_bfi_b32 v9, s8, v10, v8
	v_bfi_b32 v8, s8, v8, v10
	v_pk_mul_f16 v9, v9, 0.5 op_sel_hi:[1,0]
	v_pk_mul_f16 v8, v8, 0.5 op_sel_hi:[1,0]
	s_waitcnt vmcnt(6)
	v_pk_mul_f16 v11, v22, v9 op_sel_hi:[0,1]
	v_pk_fma_f16 v10, v22, v9, v8 op_sel:[1,0,0]
	v_pk_fma_f16 v12, v22, v9, v8 op_sel:[1,0,0] neg_lo:[1,0,0] neg_hi:[1,0,0]
	v_pk_fma_f16 v8, v22, v9, v8 op_sel:[1,0,0] neg_lo:[0,0,1] neg_hi:[0,0,1]
	v_pk_add_f16 v9, v10, v11 op_sel:[0,1] op_sel_hi:[1,0]
	v_pk_add_f16 v10, v10, v11 op_sel:[0,1] op_sel_hi:[1,0] neg_lo:[0,1] neg_hi:[0,1]
	v_pk_add_f16 v12, v12, v11 op_sel:[0,1] op_sel_hi:[1,0] neg_lo:[0,1] neg_hi:[0,1]
	;; [unrolled: 1-line block ×3, first 2 shown]
	v_bfi_b32 v9, s8, v9, v10
	v_bfi_b32 v8, s8, v12, v8
	ds_write_b32 v33, v9
	ds_write_b32 v0, v8 offset:12096
	ds_read_b32 v8, v7
	ds_read_b32 v9, v0 offset:11664
	v_add_u32_e32 v22, 0x438, v18
	s_waitcnt lgkmcnt(0)
	v_pk_add_f16 v10, v8, v9 neg_lo:[0,1] neg_hi:[0,1]
	v_pk_add_f16 v8, v8, v9
	s_nop 0
	v_bfi_b32 v9, s8, v10, v8
	v_bfi_b32 v8, s8, v8, v10
	v_pk_mul_f16 v9, v9, 0.5 op_sel_hi:[1,0]
	v_pk_mul_f16 v8, v8, 0.5 op_sel_hi:[1,0]
	s_waitcnt vmcnt(5)
	v_pk_mul_f16 v11, v32, v9 op_sel_hi:[0,1]
	v_pk_fma_f16 v10, v32, v9, v8 op_sel:[1,0,0]
	v_pk_fma_f16 v12, v32, v9, v8 op_sel:[1,0,0] neg_lo:[1,0,0] neg_hi:[1,0,0]
	v_pk_fma_f16 v8, v32, v9, v8 op_sel:[1,0,0] neg_lo:[0,0,1] neg_hi:[0,0,1]
	v_pk_add_f16 v9, v10, v11 op_sel:[0,1] op_sel_hi:[1,0]
	v_pk_add_f16 v10, v10, v11 op_sel:[0,1] op_sel_hi:[1,0] neg_lo:[0,1] neg_hi:[0,1]
	v_pk_add_f16 v12, v12, v11 op_sel:[0,1] op_sel_hi:[1,0] neg_lo:[0,1] neg_hi:[0,1]
	;; [unrolled: 1-line block ×3, first 2 shown]
	v_bfi_b32 v9, s8, v9, v10
	v_bfi_b32 v8, s8, v12, v8
	ds_write_b32 v7, v9
	ds_write_b32 v0, v8 offset:11664
	ds_read_b32 v7, v6
	ds_read_b32 v8, v0 offset:11232
	s_waitcnt lgkmcnt(0)
	v_pk_add_f16 v9, v7, v8 neg_lo:[0,1] neg_hi:[0,1]
	v_pk_add_f16 v7, v7, v8
	s_nop 0
	v_bfi_b32 v8, s8, v9, v7
	v_bfi_b32 v7, s8, v7, v9
	v_pk_mul_f16 v8, v8, 0.5 op_sel_hi:[1,0]
	v_pk_mul_f16 v7, v7, 0.5 op_sel_hi:[1,0]
	s_waitcnt vmcnt(4)
	v_pk_mul_f16 v10, v28, v8 op_sel_hi:[0,1]
	v_pk_fma_f16 v9, v28, v8, v7 op_sel:[1,0,0]
	v_pk_fma_f16 v11, v28, v8, v7 op_sel:[1,0,0] neg_lo:[1,0,0] neg_hi:[1,0,0]
	v_pk_fma_f16 v7, v28, v8, v7 op_sel:[1,0,0] neg_lo:[0,0,1] neg_hi:[0,0,1]
	v_pk_add_f16 v8, v9, v10 op_sel:[0,1] op_sel_hi:[1,0]
	v_pk_add_f16 v9, v9, v10 op_sel:[0,1] op_sel_hi:[1,0] neg_lo:[0,1] neg_hi:[0,1]
	v_pk_add_f16 v11, v11, v10 op_sel:[0,1] op_sel_hi:[1,0] neg_lo:[0,1] neg_hi:[0,1]
	;; [unrolled: 1-line block ×3, first 2 shown]
	v_bfi_b32 v8, s8, v8, v9
	v_bfi_b32 v7, s8, v11, v7
	ds_write_b32 v6, v8
	ds_write_b32 v0, v7 offset:11232
	ds_read_b32 v6, v5
	ds_read_b32 v7, v0 offset:10800
	v_add_u32_e32 v8, v31, v4
	v_mov_b32_e32 v31, v23
	s_waitcnt lgkmcnt(0)
	v_pk_add_f16 v4, v6, v7 neg_lo:[0,1] neg_hi:[0,1]
	v_pk_add_f16 v6, v6, v7
	s_nop 0
	v_bfi_b32 v7, s8, v4, v6
	v_bfi_b32 v4, s8, v6, v4
	v_pk_mul_f16 v6, v7, 0.5 op_sel_hi:[1,0]
	v_pk_mul_f16 v4, v4, 0.5 op_sel_hi:[1,0]
	s_waitcnt vmcnt(3)
	v_pk_mul_f16 v9, v29, v6 op_sel_hi:[0,1]
	v_pk_fma_f16 v7, v29, v6, v4 op_sel:[1,0,0]
	v_pk_fma_f16 v10, v29, v6, v4 op_sel:[1,0,0] neg_lo:[1,0,0] neg_hi:[1,0,0]
	v_pk_fma_f16 v4, v29, v6, v4 op_sel:[1,0,0] neg_lo:[0,0,1] neg_hi:[0,0,1]
	v_pk_add_f16 v6, v7, v9 op_sel:[0,1] op_sel_hi:[1,0]
	v_pk_add_f16 v7, v7, v9 op_sel:[0,1] op_sel_hi:[1,0] neg_lo:[0,1] neg_hi:[0,1]
	v_pk_add_f16 v10, v10, v9 op_sel:[0,1] op_sel_hi:[1,0] neg_lo:[0,1] neg_hi:[0,1]
	;; [unrolled: 1-line block ×3, first 2 shown]
	v_bfi_b32 v6, s8, v6, v7
	v_bfi_b32 v4, s8, v10, v4
	ds_write_b32 v5, v6
	ds_write_b32 v0, v4 offset:10800
	ds_read_b32 v4, v8
	ds_read_b32 v5, v0 offset:10368
	s_waitcnt lgkmcnt(0)
	v_pk_add_f16 v6, v4, v5 neg_lo:[0,1] neg_hi:[0,1]
	v_pk_add_f16 v4, v4, v5
	s_nop 0
	v_bfi_b32 v5, s8, v6, v4
	v_bfi_b32 v4, s8, v4, v6
	v_pk_mul_f16 v6, v5, 0.5 op_sel_hi:[1,0]
	v_pk_mul_f16 v7, v4, 0.5 op_sel_hi:[1,0]
	s_waitcnt vmcnt(2)
	v_pk_mul_f16 v9, v34, v6 op_sel_hi:[0,1]
	v_pk_fma_f16 v4, v34, v6, v7 op_sel:[1,0,0]
	s_nop 0
	v_pk_add_f16 v5, v4, v9 op_sel:[0,1] op_sel_hi:[1,0]
	v_pk_add_f16 v4, v4, v9 op_sel:[0,1] op_sel_hi:[1,0] neg_lo:[0,1] neg_hi:[0,1]
	s_nop 0
	v_bfi_b32 v10, s8, v5, v4
	v_lshl_add_u64 v[4:5], v[30:31], 2, s[4:5]
	global_load_dword v11, v[4:5], off
	v_pk_fma_f16 v4, v34, v6, v7 op_sel:[1,0,0] neg_lo:[1,0,0] neg_hi:[1,0,0]
	v_pk_fma_f16 v5, v34, v6, v7 op_sel:[1,0,0] neg_lo:[0,0,1] neg_hi:[0,0,1]
	v_pk_add_f16 v4, v4, v9 op_sel:[0,1] op_sel_hi:[1,0] neg_lo:[0,1] neg_hi:[0,1]
	v_pk_add_f16 v5, v5, v9 op_sel:[0,1] op_sel_hi:[1,0] neg_lo:[0,1] neg_hi:[0,1]
	ds_write_b32 v8, v10
	v_bfi_b32 v4, s8, v4, v5
	ds_write_b32 v0, v4 offset:10368
	ds_read_b32 v4, v3
	ds_read_b32 v5, v0 offset:9936
	s_waitcnt lgkmcnt(0)
	v_pk_add_f16 v6, v4, v5 neg_lo:[0,1] neg_hi:[0,1]
	v_pk_add_f16 v4, v4, v5
	s_nop 0
	v_bfi_b32 v5, s8, v6, v4
	v_bfi_b32 v4, s8, v4, v6
	v_pk_mul_f16 v6, v5, 0.5 op_sel_hi:[1,0]
	v_pk_mul_f16 v7, v4, 0.5 op_sel_hi:[1,0]
	s_waitcnt vmcnt(2)
	v_pk_mul_f16 v8, v35, v6 op_sel_hi:[0,1]
	v_pk_fma_f16 v4, v35, v6, v7 op_sel:[1,0,0]
	s_nop 0
	v_pk_add_f16 v5, v4, v8 op_sel:[0,1] op_sel_hi:[1,0]
	v_pk_add_f16 v4, v4, v8 op_sel:[0,1] op_sel_hi:[1,0] neg_lo:[0,1] neg_hi:[0,1]
	s_nop 0
	v_bfi_b32 v4, s8, v5, v4
	ds_write_b32 v3, v4
	v_lshl_add_u64 v[4:5], v[22:23], 2, s[4:5]
	global_load_dword v4, v[4:5], off
	v_pk_fma_f16 v3, v35, v6, v7 op_sel:[1,0,0] neg_lo:[1,0,0] neg_hi:[1,0,0]
	v_pk_fma_f16 v5, v35, v6, v7 op_sel:[1,0,0] neg_lo:[0,0,1] neg_hi:[0,0,1]
	v_pk_add_f16 v3, v3, v8 op_sel:[0,1] op_sel_hi:[1,0] neg_lo:[0,1] neg_hi:[0,1]
	v_pk_add_f16 v5, v5, v8 op_sel:[0,1] op_sel_hi:[1,0] neg_lo:[0,1] neg_hi:[0,1]
	v_add_u32_e32 v22, 0x4a4, v18
	v_bfi_b32 v3, s8, v3, v5
	ds_write_b32 v0, v3 offset:9936
	v_add_u32_e32 v5, v46, v2
	ds_read_b32 v2, v5
	ds_read_b32 v3, v0 offset:9504
	s_waitcnt lgkmcnt(0)
	v_pk_add_f16 v6, v2, v3 neg_lo:[0,1] neg_hi:[0,1]
	v_pk_add_f16 v2, v2, v3
	s_nop 0
	v_bfi_b32 v3, s8, v6, v2
	v_bfi_b32 v2, s8, v2, v6
	v_pk_mul_f16 v6, v3, 0.5 op_sel_hi:[1,0]
	v_pk_mul_f16 v7, v2, 0.5 op_sel_hi:[1,0]
	v_lshl_add_u64 v[2:3], v[22:23], 2, s[4:5]
	s_waitcnt vmcnt(2)
	v_pk_fma_f16 v8, v36, v6, v7 op_sel:[1,0,0]
	v_pk_mul_f16 v9, v36, v6 op_sel_hi:[0,1]
	global_load_dword v12, v[2:3], off
	v_pk_add_f16 v10, v8, v9 op_sel:[0,1] op_sel_hi:[1,0]
	v_pk_add_f16 v2, v8, v9 op_sel:[0,1] op_sel_hi:[1,0] neg_lo:[0,1] neg_hi:[0,1]
	v_pk_fma_f16 v3, v36, v6, v7 op_sel:[1,0,0] neg_lo:[0,0,1] neg_hi:[0,0,1]
	v_bfi_b32 v2, s8, v10, v2
	ds_write_b32 v5, v2
	v_pk_fma_f16 v2, v36, v6, v7 op_sel:[1,0,0] neg_lo:[1,0,0] neg_hi:[1,0,0]
	v_pk_add_f16 v3, v3, v9 op_sel:[0,1] op_sel_hi:[1,0] neg_lo:[0,1] neg_hi:[0,1]
	v_pk_add_f16 v2, v2, v9 op_sel:[0,1] op_sel_hi:[1,0] neg_lo:[0,1] neg_hi:[0,1]
	v_add_u32_e32 v22, 0x510, v18
	v_bfi_b32 v2, s8, v2, v3
	ds_write_b32 v0, v2 offset:9504
	ds_read_b32 v2, v1
	ds_read_b32 v3, v0 offset:9072
	s_waitcnt lgkmcnt(0)
	v_pk_add_f16 v5, v2, v3 neg_lo:[0,1] neg_hi:[0,1]
	v_pk_add_f16 v2, v2, v3
	s_nop 0
	v_bfi_b32 v3, s8, v5, v2
	v_bfi_b32 v5, s8, v2, v5
	v_pk_mul_f16 v6, v3, 0.5 op_sel_hi:[1,0]
	v_lshl_add_u64 v[2:3], v[22:23], 2, s[4:5]
	global_load_dword v7, v[2:3], off
	v_pk_mul_f16 v2, v5, 0.5 op_sel_hi:[1,0]
	v_add_u32_e32 v22, 0x57c, v18
	s_waitcnt vmcnt(3)
	v_pk_fma_f16 v3, v11, v6, v2 op_sel:[1,0,0]
	v_pk_mul_f16 v5, v11, v6 op_sel_hi:[0,1]
	v_pk_add_f16 v8, v3, v5 op_sel:[0,1] op_sel_hi:[1,0]
	v_pk_add_f16 v3, v3, v5 op_sel:[0,1] op_sel_hi:[1,0] neg_lo:[0,1] neg_hi:[0,1]
	s_nop 0
	v_bfi_b32 v3, s8, v8, v3
	ds_write_b32 v1, v3
	v_pk_fma_f16 v1, v11, v6, v2 op_sel:[1,0,0] neg_lo:[1,0,0] neg_hi:[1,0,0]
	v_pk_fma_f16 v2, v11, v6, v2 op_sel:[1,0,0] neg_lo:[0,0,1] neg_hi:[0,0,1]
	v_pk_add_f16 v1, v1, v5 op_sel:[0,1] op_sel_hi:[1,0] neg_lo:[0,1] neg_hi:[0,1]
	v_pk_add_f16 v2, v2, v5 op_sel:[0,1] op_sel_hi:[1,0] neg_lo:[0,1] neg_hi:[0,1]
	s_nop 0
	v_bfi_b32 v1, s8, v1, v2
	ds_write_b32 v0, v1 offset:9072
	ds_read_b32 v1, v44 offset:4320
	ds_read_b32 v2, v0 offset:8640
	s_waitcnt lgkmcnt(0)
	v_pk_add_f16 v5, v1, v2 neg_lo:[0,1] neg_hi:[0,1]
	v_pk_add_f16 v1, v1, v2
	v_lshl_add_u64 v[2:3], v[22:23], 2, s[4:5]
	global_load_dword v6, v[2:3], off
	v_bfi_b32 v2, s8, v5, v1
	v_add_u32_e32 v22, 0x5e8, v18
	v_bfi_b32 v1, s8, v1, v5
	v_pk_mul_f16 v5, v2, 0.5 op_sel_hi:[1,0]
	v_lshl_add_u64 v[2:3], v[22:23], 2, s[4:5]
	global_load_dword v2, v[2:3], off
	v_pk_mul_f16 v1, v1, 0.5 op_sel_hi:[1,0]
	s_waitcnt vmcnt(4)
	v_pk_mul_f16 v8, v4, v5 op_sel_hi:[0,1]
	v_pk_fma_f16 v3, v4, v5, v1 op_sel:[1,0,0]
	s_nop 0
	v_pk_add_f16 v9, v3, v8 op_sel:[0,1] op_sel_hi:[1,0]
	v_pk_add_f16 v3, v3, v8 op_sel:[0,1] op_sel_hi:[1,0] neg_lo:[0,1] neg_hi:[0,1]
	s_nop 0
	v_bfi_b32 v3, s8, v9, v3
	ds_write_b32 v44, v3 offset:4320
	v_pk_fma_f16 v3, v4, v5, v1 op_sel:[1,0,0] neg_lo:[1,0,0] neg_hi:[1,0,0]
	v_pk_fma_f16 v1, v4, v5, v1 op_sel:[1,0,0] neg_lo:[0,0,1] neg_hi:[0,0,1]
	v_pk_add_f16 v3, v3, v8 op_sel:[0,1] op_sel_hi:[1,0] neg_lo:[0,1] neg_hi:[0,1]
	v_pk_add_f16 v1, v1, v8 op_sel:[0,1] op_sel_hi:[1,0] neg_lo:[0,1] neg_hi:[0,1]
	s_nop 0
	v_bfi_b32 v1, s8, v3, v1
	ds_write_b32 v0, v1 offset:8640
	ds_read_b32 v1, v44 offset:4752
	ds_read_b32 v3, v0 offset:8208
	s_waitcnt lgkmcnt(0)
	v_pk_add_f16 v4, v1, v3 neg_lo:[0,1] neg_hi:[0,1]
	v_pk_add_f16 v1, v1, v3
	s_nop 0
	v_bfi_b32 v3, s8, v4, v1
	v_bfi_b32 v1, s8, v1, v4
	v_pk_mul_f16 v3, v3, 0.5 op_sel_hi:[1,0]
	v_pk_mul_f16 v1, v1, 0.5 op_sel_hi:[1,0]
	s_waitcnt vmcnt(3)
	v_pk_mul_f16 v5, v12, v3 op_sel_hi:[0,1]
	v_pk_fma_f16 v4, v12, v3, v1 op_sel:[1,0,0]
	s_nop 0
	v_pk_add_f16 v8, v4, v5 op_sel:[0,1] op_sel_hi:[1,0]
	v_pk_add_f16 v4, v4, v5 op_sel:[0,1] op_sel_hi:[1,0] neg_lo:[0,1] neg_hi:[0,1]
	s_nop 0
	v_bfi_b32 v4, s8, v8, v4
	ds_write_b32 v44, v4 offset:4752
	v_pk_fma_f16 v4, v12, v3, v1 op_sel:[1,0,0] neg_lo:[1,0,0] neg_hi:[1,0,0]
	v_pk_fma_f16 v1, v12, v3, v1 op_sel:[1,0,0] neg_lo:[0,0,1] neg_hi:[0,0,1]
	v_pk_add_f16 v4, v4, v5 op_sel:[0,1] op_sel_hi:[1,0] neg_lo:[0,1] neg_hi:[0,1]
	v_pk_add_f16 v1, v1, v5 op_sel:[0,1] op_sel_hi:[1,0] neg_lo:[0,1] neg_hi:[0,1]
	s_nop 0
	v_bfi_b32 v1, s8, v4, v1
	ds_write_b32 v0, v1 offset:8208
	ds_read_b32 v1, v44 offset:5184
	ds_read_b32 v3, v0 offset:7776
	s_waitcnt lgkmcnt(0)
	v_pk_add_f16 v4, v1, v3 neg_lo:[0,1] neg_hi:[0,1]
	v_pk_add_f16 v1, v1, v3
	s_nop 0
	v_bfi_b32 v3, s8, v4, v1
	v_bfi_b32 v1, s8, v1, v4
	v_pk_mul_f16 v3, v3, 0.5 op_sel_hi:[1,0]
	;; [unrolled: 26-line block ×4, first 2 shown]
	v_pk_mul_f16 v1, v1, 0.5 op_sel_hi:[1,0]
	s_waitcnt vmcnt(0)
	v_pk_mul_f16 v5, v2, v3 op_sel_hi:[0,1]
	v_pk_fma_f16 v4, v2, v3, v1 op_sel:[1,0,0]
	s_nop 0
	v_pk_add_f16 v6, v4, v5 op_sel:[0,1] op_sel_hi:[1,0]
	v_pk_add_f16 v4, v4, v5 op_sel:[0,1] op_sel_hi:[1,0] neg_lo:[0,1] neg_hi:[0,1]
	s_nop 0
	v_bfi_b32 v4, s8, v6, v4
	ds_write_b32 v44, v4 offset:6048
	v_pk_fma_f16 v4, v2, v3, v1 op_sel:[1,0,0] neg_lo:[1,0,0] neg_hi:[1,0,0]
	v_pk_fma_f16 v1, v2, v3, v1 op_sel:[1,0,0] neg_lo:[0,0,1] neg_hi:[0,0,1]
	v_pk_add_f16 v4, v4, v5 op_sel:[0,1] op_sel_hi:[1,0] neg_lo:[0,1] neg_hi:[0,1]
	v_pk_add_f16 v1, v1, v5 op_sel:[0,1] op_sel_hi:[1,0] neg_lo:[0,1] neg_hi:[0,1]
	s_nop 0
	v_bfi_b32 v1, s8, v4, v1
	ds_write_b32 v0, v1 offset:6912
	s_waitcnt lgkmcnt(0)
	s_barrier
	s_and_saveexec_b64 s[4:5], s[0:1]
	s_cbranch_execz .LBB0_20
; %bb.18:
	v_mul_lo_u32 v2, s3, v20
	v_mul_lo_u32 v3, s2, v21
	v_mad_u64_u32 v[0:1], s[0:1], s2, v20, 0
	v_lshl_add_u32 v8, v18, 2, 0
	v_add3_u32 v1, v1, v3, v2
	ds_read2_b32 v[2:3], v8 offset1:108
	v_lshl_add_u64 v[0:1], v[0:1], 2, s[6:7]
	v_mov_b32_e32 v19, v23
	v_lshl_add_u64 v[0:1], v[16:17], 2, v[0:1]
	v_lshl_add_u64 v[4:5], v[18:19], 2, v[0:1]
	s_waitcnt lgkmcnt(0)
	global_store_dword v[4:5], v2, off
	v_add_u32_e32 v2, 0x200, v8
	ds_read2_b32 v[4:5], v2 offset0:88 offset1:196
	v_add_u32_e32 v22, 0x6c, v18
	v_lshl_add_u64 v[6:7], v[22:23], 2, v[0:1]
	v_add_u32_e32 v22, 0xd8, v18
	global_store_dword v[6:7], v3, off
	v_lshl_add_u64 v[2:3], v[22:23], 2, v[0:1]
	s_waitcnt lgkmcnt(0)
	global_store_dword v[2:3], v4, off
	v_add_u32_e32 v2, 0x600, v8
	ds_read2_b32 v[2:3], v2 offset0:48 offset1:156
	v_add_u32_e32 v22, 0x144, v18
	v_lshl_add_u64 v[6:7], v[22:23], 2, v[0:1]
	v_add_u32_e32 v22, 0x1b0, v18
	global_store_dword v[6:7], v5, off
	;; [unrolled: 9-line block ×14, first 2 shown]
	v_lshl_add_u64 v[4:5], v[22:23], 2, v[0:1]
	v_add_u32_e32 v22, 0xc3c, v18
	s_movk_i32 s0, 0x6b
	s_waitcnt lgkmcnt(0)
	global_store_dword v[4:5], v2, off
	v_lshl_add_u64 v[4:5], v[22:23], 2, v[0:1]
	v_cmp_eq_u32_e32 vcc, s0, v18
	global_store_dword v[4:5], v3, off
	s_and_b64 exec, exec, vcc
	s_cbranch_execz .LBB0_20
; %bb.19:
	v_mov_b32_e32 v2, 0
	ds_read_b32 v2, v2 offset:12960
	v_add_co_u32_e32 v0, vcc, 0x3000, v0
	s_nop 1
	v_addc_co_u32_e32 v1, vcc, 0, v1, vcc
	s_waitcnt lgkmcnt(0)
	global_store_dword v[0:1], v2, off offset:672
.LBB0_20:
	s_endpgm
	.section	.rodata,"a",@progbits
	.p2align	6, 0x0
	.amdhsa_kernel fft_rtc_back_len3240_factors_3_3_10_6_6_wgs_108_tpt_108_halfLds_half_op_CI_CI_unitstride_sbrr_R2C_dirReg
		.amdhsa_group_segment_fixed_size 0
		.amdhsa_private_segment_fixed_size 0
		.amdhsa_kernarg_size 104
		.amdhsa_user_sgpr_count 2
		.amdhsa_user_sgpr_dispatch_ptr 0
		.amdhsa_user_sgpr_queue_ptr 0
		.amdhsa_user_sgpr_kernarg_segment_ptr 1
		.amdhsa_user_sgpr_dispatch_id 0
		.amdhsa_user_sgpr_kernarg_preload_length 0
		.amdhsa_user_sgpr_kernarg_preload_offset 0
		.amdhsa_user_sgpr_private_segment_size 0
		.amdhsa_uses_dynamic_stack 0
		.amdhsa_enable_private_segment 0
		.amdhsa_system_sgpr_workgroup_id_x 1
		.amdhsa_system_sgpr_workgroup_id_y 0
		.amdhsa_system_sgpr_workgroup_id_z 0
		.amdhsa_system_sgpr_workgroup_info 0
		.amdhsa_system_vgpr_workitem_id 0
		.amdhsa_next_free_vgpr 141
		.amdhsa_next_free_sgpr 28
		.amdhsa_accum_offset 144
		.amdhsa_reserve_vcc 1
		.amdhsa_float_round_mode_32 0
		.amdhsa_float_round_mode_16_64 0
		.amdhsa_float_denorm_mode_32 3
		.amdhsa_float_denorm_mode_16_64 3
		.amdhsa_dx10_clamp 1
		.amdhsa_ieee_mode 1
		.amdhsa_fp16_overflow 0
		.amdhsa_tg_split 0
		.amdhsa_exception_fp_ieee_invalid_op 0
		.amdhsa_exception_fp_denorm_src 0
		.amdhsa_exception_fp_ieee_div_zero 0
		.amdhsa_exception_fp_ieee_overflow 0
		.amdhsa_exception_fp_ieee_underflow 0
		.amdhsa_exception_fp_ieee_inexact 0
		.amdhsa_exception_int_div_zero 0
	.end_amdhsa_kernel
	.text
.Lfunc_end0:
	.size	fft_rtc_back_len3240_factors_3_3_10_6_6_wgs_108_tpt_108_halfLds_half_op_CI_CI_unitstride_sbrr_R2C_dirReg, .Lfunc_end0-fft_rtc_back_len3240_factors_3_3_10_6_6_wgs_108_tpt_108_halfLds_half_op_CI_CI_unitstride_sbrr_R2C_dirReg
                                        ; -- End function
	.section	.AMDGPU.csdata,"",@progbits
; Kernel info:
; codeLenInByte = 21776
; NumSgprs: 34
; NumVgprs: 141
; NumAgprs: 0
; TotalNumVgprs: 141
; ScratchSize: 0
; MemoryBound: 0
; FloatMode: 240
; IeeeMode: 1
; LDSByteSize: 0 bytes/workgroup (compile time only)
; SGPRBlocks: 4
; VGPRBlocks: 17
; NumSGPRsForWavesPerEU: 34
; NumVGPRsForWavesPerEU: 141
; AccumOffset: 144
; Occupancy: 3
; WaveLimiterHint : 1
; COMPUTE_PGM_RSRC2:SCRATCH_EN: 0
; COMPUTE_PGM_RSRC2:USER_SGPR: 2
; COMPUTE_PGM_RSRC2:TRAP_HANDLER: 0
; COMPUTE_PGM_RSRC2:TGID_X_EN: 1
; COMPUTE_PGM_RSRC2:TGID_Y_EN: 0
; COMPUTE_PGM_RSRC2:TGID_Z_EN: 0
; COMPUTE_PGM_RSRC2:TIDIG_COMP_CNT: 0
; COMPUTE_PGM_RSRC3_GFX90A:ACCUM_OFFSET: 35
; COMPUTE_PGM_RSRC3_GFX90A:TG_SPLIT: 0
	.text
	.p2alignl 6, 3212836864
	.fill 256, 4, 3212836864
	.type	__hip_cuid_e55b3189ed21c28a,@object ; @__hip_cuid_e55b3189ed21c28a
	.section	.bss,"aw",@nobits
	.globl	__hip_cuid_e55b3189ed21c28a
__hip_cuid_e55b3189ed21c28a:
	.byte	0                               ; 0x0
	.size	__hip_cuid_e55b3189ed21c28a, 1

	.ident	"AMD clang version 19.0.0git (https://github.com/RadeonOpenCompute/llvm-project roc-6.4.0 25133 c7fe45cf4b819c5991fe208aaa96edf142730f1d)"
	.section	".note.GNU-stack","",@progbits
	.addrsig
	.addrsig_sym __hip_cuid_e55b3189ed21c28a
	.amdgpu_metadata
---
amdhsa.kernels:
  - .agpr_count:     0
    .args:
      - .actual_access:  read_only
        .address_space:  global
        .offset:         0
        .size:           8
        .value_kind:     global_buffer
      - .offset:         8
        .size:           8
        .value_kind:     by_value
      - .actual_access:  read_only
        .address_space:  global
        .offset:         16
        .size:           8
        .value_kind:     global_buffer
      - .actual_access:  read_only
        .address_space:  global
        .offset:         24
        .size:           8
        .value_kind:     global_buffer
      - .actual_access:  read_only
        .address_space:  global
        .offset:         32
        .size:           8
        .value_kind:     global_buffer
      - .offset:         40
        .size:           8
        .value_kind:     by_value
      - .actual_access:  read_only
        .address_space:  global
        .offset:         48
        .size:           8
        .value_kind:     global_buffer
      - .actual_access:  read_only
        .address_space:  global
        .offset:         56
        .size:           8
        .value_kind:     global_buffer
      - .offset:         64
        .size:           4
        .value_kind:     by_value
      - .actual_access:  read_only
        .address_space:  global
        .offset:         72
        .size:           8
        .value_kind:     global_buffer
      - .actual_access:  read_only
        .address_space:  global
        .offset:         80
        .size:           8
        .value_kind:     global_buffer
      - .actual_access:  read_only
        .address_space:  global
        .offset:         88
        .size:           8
        .value_kind:     global_buffer
      - .actual_access:  write_only
        .address_space:  global
        .offset:         96
        .size:           8
        .value_kind:     global_buffer
    .group_segment_fixed_size: 0
    .kernarg_segment_align: 8
    .kernarg_segment_size: 104
    .language:       OpenCL C
    .language_version:
      - 2
      - 0
    .max_flat_workgroup_size: 108
    .name:           fft_rtc_back_len3240_factors_3_3_10_6_6_wgs_108_tpt_108_halfLds_half_op_CI_CI_unitstride_sbrr_R2C_dirReg
    .private_segment_fixed_size: 0
    .sgpr_count:     34
    .sgpr_spill_count: 0
    .symbol:         fft_rtc_back_len3240_factors_3_3_10_6_6_wgs_108_tpt_108_halfLds_half_op_CI_CI_unitstride_sbrr_R2C_dirReg.kd
    .uniform_work_group_size: 1
    .uses_dynamic_stack: false
    .vgpr_count:     141
    .vgpr_spill_count: 0
    .wavefront_size: 64
amdhsa.target:   amdgcn-amd-amdhsa--gfx950
amdhsa.version:
  - 1
  - 2
...

	.end_amdgpu_metadata
